;; amdgpu-corpus repo=ROCm/rocFFT kind=compiled arch=gfx906 opt=O3
	.text
	.amdgcn_target "amdgcn-amd-amdhsa--gfx906"
	.amdhsa_code_object_version 6
	.protected	bluestein_single_back_len156_dim1_half_op_CI_CI ; -- Begin function bluestein_single_back_len156_dim1_half_op_CI_CI
	.globl	bluestein_single_back_len156_dim1_half_op_CI_CI
	.p2align	8
	.type	bluestein_single_back_len156_dim1_half_op_CI_CI,@function
bluestein_single_back_len156_dim1_half_op_CI_CI: ; @bluestein_single_back_len156_dim1_half_op_CI_CI
; %bb.0:
	v_mul_u32_u24_e32 v1, 0x13b2, v0
	s_load_dwordx4 s[16:19], s[4:5], 0x28
	v_lshrrev_b32_e32 v1, 16, v1
	v_mad_u64_u32 v[21:22], s[0:1], s6, 9, v[1:2]
	v_mov_b32_e32 v22, 0
                                        ; kill: def $vgpr2 killed $sgpr0 killed $exec
	s_waitcnt lgkmcnt(0)
	v_cmp_gt_u64_e32 vcc, s[16:17], v[21:22]
	s_and_saveexec_b64 s[0:1], vcc
	s_cbranch_execz .LBB0_10
; %bb.1:
	s_load_dwordx4 s[8:11], s[4:5], 0x18
	s_load_dwordx4 s[12:15], s[4:5], 0x0
	v_mul_lo_u16_e32 v1, 13, v1
	v_sub_u16_e32 v47, v0, v1
	s_mov_b32 s7, 0x38e38e39
	s_waitcnt lgkmcnt(0)
	s_load_dwordx4 s[0:3], s[8:9], 0x0
	v_mul_hi_u32 v7, v21, s7
	s_mov_b32 s6, 0xffff
	v_mul_lo_u16_e32 v17, 3, v47
                                        ; implicit-def: $vgpr74
                                        ; implicit-def: $vgpr75
	s_waitcnt lgkmcnt(0)
	v_mad_u64_u32 v[0:1], s[8:9], s2, v21, 0
	v_mad_u64_u32 v[2:3], s[16:17], s0, v47, 0
	s_load_dwordx4 s[8:11], s[10:11], 0x0
	s_mul_hi_u32 s7, s0, 0xfffffe94
	v_mad_u64_u32 v[4:5], s[2:3], s3, v21, v[1:2]
	v_mov_b32_e32 v1, v3
	v_mad_u64_u32 v[5:6], s[2:3], s1, v47, v[1:2]
	v_lshrrev_b32_e32 v1, 1, v7
	v_lshl_add_u32 v6, v1, 3, v1
	v_mov_b32_e32 v1, v4
	v_lshlrev_b64 v[0:1], 2, v[0:1]
	v_mov_b32_e32 v3, v5
	v_mov_b32_e32 v4, s19
	v_add_co_u32_e32 v5, vcc, s18, v0
	v_addc_co_u32_e32 v4, vcc, v4, v1, vcc
	v_lshlrev_b64 v[0:1], 2, v[2:3]
	s_mul_i32 s2, s1, 0xd0
	v_add_co_u32_e32 v2, vcc, v5, v0
	v_addc_co_u32_e32 v3, vcc, v4, v1, vcc
	s_mul_hi_u32 s3, s0, 0xd0
	global_load_dword v5, v[2:3], off
	v_lshlrev_b32_e32 v0, 2, v47
	s_add_i32 s2, s3, s2
	s_mul_i32 s3, s0, 0xd0
	global_load_dword v49, v0, s[12:13]
	global_load_dword v48, v0, s[12:13] offset:208
	v_mov_b32_e32 v4, s2
	v_add_co_u32_e32 v1, vcc, s3, v2
	v_addc_co_u32_e32 v2, vcc, v3, v4, vcc
	v_add_co_u32_e32 v3, vcc, s3, v1
	v_addc_co_u32_e32 v4, vcc, v2, v4, vcc
	global_load_dword v7, v[1:2], off
	global_load_dword v8, v[3:4], off
	global_load_dword v46, v0, s[12:13] offset:416
	s_mulk_i32 s1, 0xfe94
	s_sub_i32 s7, s7, s0
	s_add_i32 s1, s7, s1
	s_mulk_i32 s0, 0xfe94
	v_mov_b32_e32 v2, s1
	v_add_co_u32_e32 v1, vcc, s0, v3
	v_addc_co_u32_e32 v2, vcc, v4, v2, vcc
	global_load_dword v3, v[1:2], off
	global_load_dword v45, v0, s[12:13] offset:52
	v_mov_b32_e32 v4, s2
	v_add_co_u32_e32 v1, vcc, s3, v1
	v_addc_co_u32_e32 v2, vcc, v2, v4, vcc
	global_load_dword v4, v[1:2], off
	global_load_dword v44, v0, s[12:13] offset:260
	;; [unrolled: 5-line block ×7, first 2 shown]
	global_load_dword v38, v0, s[12:13] offset:156
	v_mov_b32_e32 v14, s2
	v_add_co_u32_e32 v1, vcc, s3, v1
	v_addc_co_u32_e32 v2, vcc, v2, v14, vcc
	global_load_dword v14, v[1:2], off
	v_mov_b32_e32 v15, s2
	v_add_co_u32_e32 v1, vcc, s3, v1
	v_addc_co_u32_e32 v2, vcc, v2, v15, vcc
	global_load_dword v15, v[1:2], off
	global_load_dword v36, v0, s[12:13] offset:572
	v_sub_u32_e32 v6, v21, v6
	v_mul_u32_u24_e32 v1, 0x9c, v6
	v_lshlrev_b32_e32 v50, 2, v1
	v_add_u32_e32 v41, v0, v50
	s_movk_i32 s0, 0x3aee
	v_lshl_add_u32 v51, v17, 2, v50
	s_waitcnt vmcnt(23)
	v_lshrrev_b32_e32 v2, 16, v5
	v_add_co_u32_e32 v16, vcc, 13, v47
	s_load_dwordx2 s[2:3], s[4:5], 0x38
	s_waitcnt vmcnt(22)
	v_mul_f16_sdwa v6, v49, v2 dst_sel:DWORD dst_unused:UNUSED_PAD src0_sel:WORD_1 src1_sel:DWORD
	v_mul_f16_sdwa v1, v49, v5 dst_sel:DWORD dst_unused:UNUSED_PAD src0_sel:WORD_1 src1_sel:DWORD
	v_fma_f16 v6, v49, v5, v6
	v_fma_f16 v1, v49, v2, -v1
	v_pack_b32_f16 v1, v6, v1
	s_waitcnt vmcnt(20)
	v_lshrrev_b32_e32 v2, 16, v7
	v_mul_f16_sdwa v5, v48, v2 dst_sel:DWORD dst_unused:UNUSED_PAD src0_sel:WORD_1 src1_sel:DWORD
	v_mul_f16_sdwa v6, v48, v7 dst_sel:DWORD dst_unused:UNUSED_PAD src0_sel:WORD_1 src1_sel:DWORD
	v_fma_f16 v5, v48, v7, v5
	v_fma_f16 v2, v48, v2, -v6
	v_pack_b32_f16 v2, v5, v2
	ds_write_b32 v41, v2 offset:208
	s_waitcnt vmcnt(19)
	v_lshrrev_b32_e32 v2, 16, v8
	s_waitcnt vmcnt(18)
	v_mul_f16_sdwa v5, v46, v2 dst_sel:DWORD dst_unused:UNUSED_PAD src0_sel:WORD_1 src1_sel:DWORD
	v_mul_f16_sdwa v6, v46, v8 dst_sel:DWORD dst_unused:UNUSED_PAD src0_sel:WORD_1 src1_sel:DWORD
	v_fma_f16 v5, v46, v8, v5
	v_fma_f16 v2, v46, v2, -v6
	v_pack_b32_f16 v2, v5, v2
	ds_write_b32 v41, v2 offset:416
	s_waitcnt vmcnt(17)
	v_lshrrev_b32_e32 v2, 16, v3
	s_waitcnt vmcnt(16)
	v_mul_f16_sdwa v5, v45, v2 dst_sel:DWORD dst_unused:UNUSED_PAD src0_sel:WORD_1 src1_sel:DWORD
	v_fma_f16 v5, v45, v3, v5
	v_mul_f16_sdwa v3, v45, v3 dst_sel:DWORD dst_unused:UNUSED_PAD src0_sel:WORD_1 src1_sel:DWORD
	v_fma_f16 v2, v45, v2, -v3
	v_pack_b32_f16 v2, v5, v2
	ds_write2_b32 v41, v1, v2 offset1:13
	s_waitcnt vmcnt(15)
	v_lshrrev_b32_e32 v1, 16, v4
	s_waitcnt vmcnt(14)
	v_mul_f16_sdwa v2, v44, v1 dst_sel:DWORD dst_unused:UNUSED_PAD src0_sel:WORD_1 src1_sel:DWORD
	v_mul_f16_sdwa v3, v44, v4 dst_sel:DWORD dst_unused:UNUSED_PAD src0_sel:WORD_1 src1_sel:DWORD
	v_fma_f16 v2, v44, v4, v2
	v_fma_f16 v1, v44, v1, -v3
	v_pack_b32_f16 v1, v2, v1
	s_waitcnt vmcnt(13)
	v_lshrrev_b32_e32 v2, 16, v9
	s_waitcnt vmcnt(12)
	v_mul_f16_sdwa v3, v43, v2 dst_sel:DWORD dst_unused:UNUSED_PAD src0_sel:WORD_1 src1_sel:DWORD
	v_mul_f16_sdwa v4, v43, v9 dst_sel:DWORD dst_unused:UNUSED_PAD src0_sel:WORD_1 src1_sel:DWORD
	v_fma_f16 v3, v43, v9, v3
	v_fma_f16 v2, v43, v2, -v4
	v_pack_b32_f16 v2, v3, v2
	;; [unrolled: 8-line block ×4, first 2 shown]
	ds_write2_b32 v41, v1, v4 offset0:65 offset1:78
	s_waitcnt vmcnt(7)
	v_lshrrev_b32_e32 v1, 16, v12
	s_waitcnt vmcnt(6)
	v_mul_f16_sdwa v4, v39, v1 dst_sel:DWORD dst_unused:UNUSED_PAD src0_sel:WORD_1 src1_sel:DWORD
	v_mul_f16_sdwa v5, v39, v12 dst_sel:DWORD dst_unused:UNUSED_PAD src0_sel:WORD_1 src1_sel:DWORD
	v_fma_f16 v4, v39, v12, v4
	v_fma_f16 v1, v39, v1, -v5
	v_pack_b32_f16 v1, v4, v1
	ds_write2_b32 v41, v2, v1 offset0:117 offset1:130
	s_waitcnt vmcnt(5)
	v_lshrrev_b32_e32 v1, 16, v13
	s_waitcnt vmcnt(3)
	v_mul_f16_sdwa v2, v38, v1 dst_sel:DWORD dst_unused:UNUSED_PAD src0_sel:WORD_1 src1_sel:DWORD
	v_mul_f16_sdwa v4, v38, v13 dst_sel:DWORD dst_unused:UNUSED_PAD src0_sel:WORD_1 src1_sel:DWORD
	v_fma_f16 v2, v38, v13, v2
	v_fma_f16 v1, v38, v1, -v4
	v_pack_b32_f16 v1, v2, v1
	ds_write2_b32 v41, v3, v1 offset0:26 offset1:39
	s_waitcnt vmcnt(2)
	v_lshrrev_b32_e32 v1, 16, v14
	v_mul_f16_sdwa v2, v37, v1 dst_sel:DWORD dst_unused:UNUSED_PAD src0_sel:WORD_1 src1_sel:DWORD
	v_mul_f16_sdwa v3, v37, v14 dst_sel:DWORD dst_unused:UNUSED_PAD src0_sel:WORD_1 src1_sel:DWORD
	v_fma_f16 v2, v37, v14, v2
	v_fma_f16 v1, v37, v1, -v3
	v_pack_b32_f16 v1, v2, v1
	ds_write_b32 v41, v1 offset:364
	s_waitcnt vmcnt(1)
	v_lshrrev_b32_e32 v1, 16, v15
	s_waitcnt vmcnt(0)
	v_mul_f16_sdwa v2, v36, v1 dst_sel:DWORD dst_unused:UNUSED_PAD src0_sel:WORD_1 src1_sel:DWORD
	v_mul_f16_sdwa v3, v36, v15 dst_sel:DWORD dst_unused:UNUSED_PAD src0_sel:WORD_1 src1_sel:DWORD
	v_fma_f16 v2, v36, v15, v2
	v_fma_f16 v1, v36, v1, -v3
	v_pack_b32_f16 v1, v2, v1
	ds_write_b32 v41, v1 offset:572
	s_waitcnt lgkmcnt(0)
	s_barrier
	ds_read2_b32 v[1:2], v41 offset1:13
	ds_read2_b32 v[3:4], v41 offset0:52 offset1:65
	ds_read2_b32 v[5:6], v41 offset0:104 offset1:117
	v_add_co_u32_e32 v10, vcc, 26, v47
	v_add_u32_e32 v11, 39, v47
	s_waitcnt lgkmcnt(1)
	v_pk_add_f16 v7, v2, v4
	s_waitcnt lgkmcnt(0)
	v_pk_add_f16 v12, v7, v6
	v_pk_add_f16 v7, v4, v6
	v_pk_add_f16 v4, v4, v6 neg_lo:[0,1] neg_hi:[0,1]
	v_pk_fma_f16 v2, v7, 0.5, v2 op_sel_hi:[1,0,1] neg_lo:[1,0,0] neg_hi:[1,0,0]
	v_pk_mul_f16 v4, v4, s0 op_sel_hi:[1,0]
	v_pk_add_f16 v6, v2, v4 op_sel:[0,1] op_sel_hi:[1,0]
	v_pk_add_f16 v2, v2, v4 op_sel:[0,1] op_sel_hi:[1,0] neg_lo:[0,1] neg_hi:[0,1]
	v_bfi_b32 v4, s6, v6, v2
	v_bfi_b32 v13, s6, v2, v6
	ds_read2_b32 v[6:7], v41 offset0:78 offset1:91
	ds_read2_b32 v[8:9], v41 offset0:130 offset1:143
	v_pk_add_f16 v2, v1, v3
	v_pk_add_f16 v14, v2, v5
	;; [unrolled: 1-line block ×3, first 2 shown]
	v_pk_add_f16 v5, v3, v5 neg_lo:[0,1] neg_hi:[0,1]
	ds_read2_b32 v[2:3], v41 offset0:26 offset1:39
	v_pk_fma_f16 v1, v15, 0.5, v1 op_sel_hi:[1,0,1] neg_lo:[1,0,0] neg_hi:[1,0,0]
	v_pk_mul_f16 v5, v5, s0 op_sel_hi:[1,0]
	v_pk_add_f16 v17, v1, v5 op_sel:[0,1] op_sel_hi:[1,0]
	v_pk_add_f16 v1, v1, v5 op_sel:[0,1] op_sel_hi:[1,0] neg_lo:[0,1] neg_hi:[0,1]
	v_bfi_b32 v5, s6, v17, v1
	s_waitcnt lgkmcnt(1)
	v_pk_add_f16 v15, v6, v8
	s_waitcnt lgkmcnt(0)
	s_barrier
	ds_write2_b32 v51, v14, v5 offset1:1
	v_pk_add_f16 v5, v6, v8 neg_lo:[0,1] neg_hi:[0,1]
	v_pk_fma_f16 v15, v15, 0.5, v2 op_sel_hi:[1,0,1] neg_lo:[1,0,0] neg_hi:[1,0,0]
	v_pk_mul_f16 v5, v5, s0 op_sel_hi:[1,0]
	v_pk_add_f16 v14, v15, v5 op_sel:[0,1] op_sel_hi:[1,0]
	v_pk_add_f16 v5, v15, v5 op_sel:[0,1] op_sel_hi:[1,0] neg_lo:[0,1] neg_hi:[0,1]
	v_bfi_b32 v1, s6, v1, v17
	v_bfi_b32 v15, s6, v14, v5
	v_bfi_b32 v5, s6, v5, v14
	v_mul_u32_u24_e32 v14, 3, v16
	ds_write_b32 v51, v1 offset:8
	v_pk_add_f16 v1, v2, v6
	v_lshl_add_u32 v53, v14, 2, v50
	v_mul_u32_u24_e32 v14, 3, v10
	v_pk_add_f16 v1, v1, v8
	v_lshl_add_u32 v54, v14, 2, v50
	v_mul_u32_u24_e32 v2, 3, v11
	ds_write2_b32 v53, v12, v4 offset1:1
	ds_write_b32 v53, v13 offset:8
	ds_write2_b32 v54, v1, v15 offset1:1
	ds_write_b32 v54, v5 offset:8
	v_pk_add_f16 v1, v7, v9
	v_lshl_add_u32 v52, v2, 2, v50
	v_pk_add_f16 v2, v3, v7
	v_pk_fma_f16 v1, v1, 0.5, v3 op_sel_hi:[1,0,1] neg_lo:[1,0,0] neg_hi:[1,0,0]
	v_pk_add_f16 v3, v7, v9 neg_lo:[0,1] neg_hi:[0,1]
	v_pk_mul_f16 v3, v3, s0 op_sel_hi:[1,0]
	v_pk_add_f16 v4, v1, v3 op_sel:[0,1] op_sel_hi:[1,0]
	v_pk_add_f16 v1, v1, v3 op_sel:[0,1] op_sel_hi:[1,0] neg_lo:[0,1] neg_hi:[0,1]
	v_bfi_b32 v3, s6, v4, v1
	v_bfi_b32 v1, s6, v1, v4
	s_movk_i32 s0, 0xab
	ds_write_b32 v52, v1 offset:8
	v_mul_lo_u16_sdwa v1, v47, s0 dst_sel:DWORD dst_unused:UNUSED_PAD src0_sel:BYTE_0 src1_sel:DWORD
	v_pk_add_f16 v2, v2, v9
	v_lshrrev_b16_e32 v9, 9, v1
	v_mul_lo_u16_e32 v1, 3, v9
	v_sub_u16_e32 v11, v47, v1
	v_mul_lo_u16_e32 v1, 12, v11
	v_and_b32_e32 v1, 0xfc, v1
	ds_write2_b32 v52, v2, v3 offset1:1
	v_mov_b32_e32 v3, s15
	v_add_co_u32_e32 v1, vcc, s14, v1
	v_addc_co_u32_e32 v2, vcc, 0, v3, vcc
	s_waitcnt lgkmcnt(0)
	s_barrier
	global_load_dwordx3 v[12:14], v[1:2], off
	v_mul_lo_u16_sdwa v1, v16, s0 dst_sel:DWORD dst_unused:UNUSED_PAD src0_sel:BYTE_0 src1_sel:DWORD
	v_lshrrev_b16_e32 v24, 9, v1
	v_mul_lo_u16_e32 v1, 3, v24
	v_sub_u16_e32 v25, v16, v1
	v_mul_lo_u16_e32 v1, 12, v25
	v_and_b32_e32 v1, 0xfc, v1
	v_add_co_u32_e32 v1, vcc, s14, v1
	v_addc_co_u32_e32 v2, vcc, 0, v3, vcc
	global_load_dwordx3 v[15:17], v[1:2], off
	v_mul_lo_u16_sdwa v3, v10, s0 dst_sel:DWORD dst_unused:UNUSED_PAD src0_sel:BYTE_0 src1_sel:DWORD
	v_lshrrev_b16_e32 v57, 9, v3
	v_mul_lo_u16_e32 v3, 3, v57
	v_sub_u16_e32 v7, v10, v3
	v_and_b32_e32 v61, 0xff, v7
	v_mad_u64_u32 v[7:8], s[0:1], v61, 12, s[14:15]
	ds_read2_b32 v[3:4], v41 offset0:78 offset1:91
	global_load_dwordx3 v[18:20], v[7:8], off
	ds_read2_b32 v[1:2], v41 offset0:26 offset1:39
	s_waitcnt lgkmcnt(0)
	v_lshrrev_b32_e32 v5, 16, v2
	s_waitcnt vmcnt(2)
	v_mul_f16_sdwa v6, v2, v12 dst_sel:DWORD dst_unused:UNUSED_PAD src0_sel:DWORD src1_sel:WORD_1
	v_fma_f16 v10, v5, v12, v6
	v_mul_f16_sdwa v5, v5, v12 dst_sel:DWORD dst_unused:UNUSED_PAD src0_sel:DWORD src1_sel:WORD_1
	v_fma_f16 v22, v2, v12, -v5
	v_lshrrev_b32_e32 v2, 16, v3
	v_mul_f16_sdwa v5, v3, v13 dst_sel:DWORD dst_unused:UNUSED_PAD src0_sel:DWORD src1_sel:WORD_1
	v_fma_f16 v28, v2, v13, v5
	ds_read2_b32 v[5:6], v41 offset0:104 offset1:117
	v_mul_f16_sdwa v2, v2, v13 dst_sel:DWORD dst_unused:UNUSED_PAD src0_sel:DWORD src1_sel:WORD_1
	v_fma_f16 v23, v3, v13, -v2
	ds_read2_b32 v[2:3], v41 offset1:13
	s_waitcnt lgkmcnt(1)
	v_lshrrev_b32_e32 v26, 16, v6
	v_mul_f16_sdwa v7, v6, v14 dst_sel:DWORD dst_unused:UNUSED_PAD src0_sel:DWORD src1_sel:WORD_1
	v_fma_f16 v7, v26, v14, v7
	v_mul_f16_sdwa v8, v26, v14 dst_sel:DWORD dst_unused:UNUSED_PAD src0_sel:DWORD src1_sel:WORD_1
	v_fma_f16 v6, v6, v14, -v8
	s_waitcnt lgkmcnt(0)
	v_sub_f16_e32 v8, v2, v23
	v_sub_f16_e32 v7, v10, v7
	;; [unrolled: 1-line block ×3, first 2 shown]
	v_fma_f16 v10, v10, 2.0, -v7
	v_fma_f16 v23, v2, 2.0, -v8
	v_sub_f16_e32 v27, v8, v7
	v_mul_lo_u16_e32 v7, 12, v9
	v_lshrrev_b32_e32 v2, 16, v2
	v_fma_f16 v22, v22, 2.0, -v6
	v_or_b32_e32 v11, v7, v11
	v_sub_f16_e32 v7, v2, v28
	v_sub_f16_e32 v26, v23, v22
	v_add_f16_e32 v63, v7, v6
	v_fma_f16 v22, v23, 2.0, -v26
	v_fma_f16 v23, v8, 2.0, -v27
	v_fma_f16 v2, v2, 2.0, -v7
	v_fma_f16 v59, v7, 2.0, -v63
	ds_read2_b32 v[6:7], v41 offset0:52 offset1:65
	ds_read2_b32 v[8:9], v41 offset0:130 offset1:143
	v_sub_f16_e32 v60, v2, v10
	v_fma_f16 v58, v2, 2.0, -v60
	v_and_b32_e32 v2, 0xff, v11
	v_lshl_add_u32 v55, v2, 2, v50
	v_pack_b32_f16 v2, v22, v58
	v_pack_b32_f16 v10, v23, v59
	s_waitcnt lgkmcnt(1)
	v_lshrrev_b32_e32 v11, 16, v6
	s_waitcnt vmcnt(1)
	v_mul_f16_sdwa v28, v6, v15 dst_sel:DWORD dst_unused:UNUSED_PAD src0_sel:DWORD src1_sel:WORD_1
	s_waitcnt vmcnt(0) lgkmcnt(0)
	s_barrier
	ds_write2_b32 v55, v2, v10 offset1:3
	v_pack_b32_f16 v2, v26, v60
	v_pack_b32_f16 v10, v27, v63
	v_fma_f16 v28, v11, v15, v28
	v_mul_f16_sdwa v11, v11, v15 dst_sel:DWORD dst_unused:UNUSED_PAD src0_sel:DWORD src1_sel:WORD_1
	ds_write2_b32 v55, v2, v10 offset0:6 offset1:9
	v_lshrrev_b32_e32 v2, 16, v4
	v_fma_f16 v6, v6, v15, -v11
	v_lshrrev_b32_e32 v11, 16, v8
	v_mul_f16_sdwa v29, v8, v17 dst_sel:DWORD dst_unused:UNUSED_PAD src0_sel:DWORD src1_sel:WORD_1
	v_mul_f16_sdwa v10, v2, v16 dst_sel:DWORD dst_unused:UNUSED_PAD src0_sel:DWORD src1_sel:WORD_1
	v_fma_f16 v29, v11, v17, v29
	v_mul_f16_sdwa v11, v11, v17 dst_sel:DWORD dst_unused:UNUSED_PAD src0_sel:DWORD src1_sel:WORD_1
	v_fma_f16 v10, v4, v16, -v10
	v_mul_f16_sdwa v4, v4, v16 dst_sel:DWORD dst_unused:UNUSED_PAD src0_sel:DWORD src1_sel:WORD_1
	v_fma_f16 v8, v8, v17, -v11
	v_fma_f16 v2, v2, v16, v4
	v_sub_f16_e32 v4, v3, v10
	v_sub_f16_e32 v8, v6, v8
	v_lshrrev_b32_e32 v10, 16, v3
	v_fma_f16 v3, v3, 2.0, -v4
	v_sub_f16_e32 v11, v28, v29
	v_fma_f16 v6, v6, 2.0, -v8
	v_sub_f16_e32 v30, v3, v6
	v_sub_f16_e32 v31, v4, v11
	;; [unrolled: 1-line block ×3, first 2 shown]
	v_fma_f16 v32, v28, 2.0, -v11
	v_fma_f16 v28, v3, 2.0, -v30
	v_fma_f16 v29, v4, 2.0, -v31
	v_mul_lo_u16_e32 v3, 12, v24
	v_fma_f16 v4, v10, 2.0, -v2
	v_or_b32_e32 v3, v3, v25
	v_sub_f16_e32 v68, v4, v32
	v_add_f16_e32 v69, v2, v8
	v_fma_f16 v66, v4, 2.0, -v68
	v_fma_f16 v67, v2, 2.0, -v69
	v_and_b32_e32 v2, 0xff, v3
	v_lshl_add_u32 v56, v2, 2, v50
	v_pack_b32_f16 v2, v28, v66
	v_pack_b32_f16 v3, v29, v67
	ds_write2_b32 v56, v2, v3 offset1:3
	v_pack_b32_f16 v2, v30, v68
	v_pack_b32_f16 v3, v31, v69
	ds_write2_b32 v56, v2, v3 offset0:6 offset1:9
	v_lshrrev_b32_e32 v2, 16, v7
	v_mul_f16_sdwa v4, v7, v18 dst_sel:DWORD dst_unused:UNUSED_PAD src0_sel:DWORD src1_sel:WORD_1
	v_mul_f16_sdwa v3, v2, v18 dst_sel:DWORD dst_unused:UNUSED_PAD src0_sel:DWORD src1_sel:WORD_1
	v_fma_f16 v2, v2, v18, v4
	v_lshrrev_b32_e32 v4, 16, v5
	v_mul_f16_sdwa v6, v4, v19 dst_sel:DWORD dst_unused:UNUSED_PAD src0_sel:DWORD src1_sel:WORD_1
	v_fma_f16 v6, v5, v19, -v6
	v_mul_f16_sdwa v5, v5, v19 dst_sel:DWORD dst_unused:UNUSED_PAD src0_sel:DWORD src1_sel:WORD_1
	v_fma_f16 v4, v4, v19, v5
	v_lshrrev_b32_e32 v5, 16, v9
	v_fma_f16 v3, v7, v18, -v3
	v_mul_f16_sdwa v7, v5, v20 dst_sel:DWORD dst_unused:UNUSED_PAD src0_sel:DWORD src1_sel:WORD_1
	v_fma_f16 v7, v9, v20, -v7
	v_mul_f16_sdwa v8, v9, v20 dst_sel:DWORD dst_unused:UNUSED_PAD src0_sel:DWORD src1_sel:WORD_1
	v_sub_f16_e32 v6, v1, v6
	v_sub_f16_e32 v7, v3, v7
	v_fma_f16 v5, v5, v20, v8
	v_lshrrev_b32_e32 v8, 16, v1
	v_fma_f16 v1, v1, 2.0, -v6
	v_fma_f16 v3, v3, 2.0, -v7
	v_sub_f16_e32 v5, v2, v5
	v_sub_f16_e32 v34, v1, v3
	;; [unrolled: 1-line block ×3, first 2 shown]
	v_fma_f16 v2, v2, 2.0, -v5
	v_fma_f16 v4, v8, 2.0, -v3
	v_sub_f16_e32 v35, v6, v5
	v_fma_f16 v32, v1, 2.0, -v34
	v_mul_u32_u24_e32 v1, 12, v57
	v_sub_f16_e32 v72, v4, v2
	v_add_f16_e32 v73, v3, v7
	v_fma_f16 v33, v6, 2.0, -v35
	v_or_b32_e32 v1, v1, v61
	v_fma_f16 v70, v4, 2.0, -v72
	v_fma_f16 v71, v3, 2.0, -v73
	v_lshl_add_u32 v57, v1, 2, v50
	v_pack_b32_f16 v1, v32, v70
	v_pack_b32_f16 v2, v33, v71
	ds_write2_b32 v57, v1, v2 offset1:3
	v_pack_b32_f16 v1, v34, v72
	v_pack_b32_f16 v2, v35, v73
	ds_write2_b32 v57, v1, v2 offset0:6 offset1:9
	v_mov_b32_e32 v1, s13
	v_add_co_u32_e32 v24, vcc, s12, v0
	v_addc_co_u32_e32 v25, vcc, 0, v1, vcc
	v_cmp_gt_u16_e32 vcc, 12, v47
	s_waitcnt lgkmcnt(0)
	s_barrier
	s_and_saveexec_b64 s[0:1], vcc
	s_cbranch_execz .LBB0_3
; %bb.2:
	ds_read2_b32 v[22:23], v41 offset1:12
	ds_read2_b32 v[26:27], v41 offset0:24 offset1:36
	ds_read2_b32 v[28:29], v41 offset0:48 offset1:60
	;; [unrolled: 1-line block ×5, first 2 shown]
	ds_read_b32 v74, v41 offset:576
	s_waitcnt lgkmcnt(6)
	v_lshrrev_b32_e32 v58, 16, v22
	v_lshrrev_b32_e32 v59, 16, v23
	s_waitcnt lgkmcnt(5)
	v_lshrrev_b32_e32 v60, 16, v26
	v_lshrrev_b32_e32 v63, 16, v27
	;; [unrolled: 3-line block ×6, first 2 shown]
	s_waitcnt lgkmcnt(0)
	v_lshrrev_b32_e32 v75, 16, v74
.LBB0_3:
	s_or_b64 exec, exec, s[0:1]
	v_add_u32_e32 v0, -12, v47
	v_cndmask_b32_e32 v0, v0, v47, vcc
	v_mul_hi_i32_i24_e32 v1, 48, v0
	v_mul_i32_i24_e32 v0, 48, v0
	v_mov_b32_e32 v2, s15
	v_add_co_u32_e64 v61, s[0:1], s14, v0
	v_addc_co_u32_e64 v62, s[0:1], v2, v1, s[0:1]
	global_load_dwordx4 v[4:7], v[61:62], off offset:36
	global_load_dwordx4 v[0:3], v[61:62], off offset:52
	;; [unrolled: 1-line block ×3, first 2 shown]
	s_movk_i32 s4, 0x3b15
	s_movk_i32 s5, 0x388b
	;; [unrolled: 1-line block ×3, first 2 shown]
	s_mov_b32 s7, 0xb5ac
	s_mov_b32 s14, 0xb9fd
	;; [unrolled: 1-line block ×9, first 2 shown]
	s_waitcnt vmcnt(2)
	v_mul_f16_sdwa v64, v59, v4 dst_sel:DWORD dst_unused:UNUSED_PAD src0_sel:DWORD src1_sel:WORD_1
	v_mul_f16_sdwa v65, v23, v4 dst_sel:DWORD dst_unused:UNUSED_PAD src0_sel:DWORD src1_sel:WORD_1
	;; [unrolled: 1-line block ×4, first 2 shown]
	s_waitcnt vmcnt(1)
	v_mul_f16_sdwa v80, v67, v0 dst_sel:DWORD dst_unused:UNUSED_PAD src0_sel:DWORD src1_sel:WORD_1
	v_mul_f16_sdwa v81, v29, v0 dst_sel:DWORD dst_unused:UNUSED_PAD src0_sel:DWORD src1_sel:WORD_1
	;; [unrolled: 1-line block ×8, first 2 shown]
	s_waitcnt vmcnt(0)
	v_mul_f16_sdwa v88, v71, v8 dst_sel:DWORD dst_unused:UNUSED_PAD src0_sel:DWORD src1_sel:WORD_1
	v_mul_f16_sdwa v89, v33, v8 dst_sel:DWORD dst_unused:UNUSED_PAD src0_sel:DWORD src1_sel:WORD_1
	;; [unrolled: 1-line block ×11, first 2 shown]
	v_fma_f16 v59, v59, v4, v65
	v_fma_f16 v64, v23, v4, -v64
	v_fma_f16 v65, v28, v7, -v78
	v_fma_f16 v28, v66, v7, v79
	v_fma_f16 v66, v29, v0, -v80
	v_fma_f16 v29, v67, v0, v81
	v_fma_f16 v67, v30, v1, -v82
	v_fma_f16 v30, v68, v1, v83
	v_fma_f16 v68, v31, v2, -v84
	v_fma_f16 v31, v69, v2, v85
	v_fma_f16 v69, v32, v3, -v86
	v_fma_f16 v32, v70, v3, v87
	v_fma_f16 v70, v33, v8, -v88
	v_fma_f16 v33, v71, v8, v89
	v_fma_f16 v71, v34, v9, -v90
	v_fma_f16 v34, v72, v9, v91
	v_fma_f16 v72, v35, v10, -v92
	v_fma_f16 v35, v73, v10, v93
	v_fma_f16 v73, v74, v11, -v94
	v_mul_f16_sdwa v62, v63, v6 dst_sel:DWORD dst_unused:UNUSED_PAD src0_sel:DWORD src1_sel:WORD_1
	v_fma_f16 v61, v26, v5, -v61
	v_fma_f16 v23, v60, v5, v76
	v_fma_f16 v60, v63, v6, v77
	;; [unrolled: 1-line block ×3, first 2 shown]
	v_sub_f16_e32 v83, v64, v73
	v_fma_f16 v62, v27, v6, -v62
	v_add_f16_e32 v97, v59, v63
	v_sub_f16_e32 v104, v59, v63
	v_sub_f16_e32 v84, v61, v72
	v_mul_f16_e32 v78, 0xb770, v83
	v_add_f16_e32 v77, v64, v73
	v_add_f16_e32 v98, v23, v35
	v_sub_f16_e32 v105, v23, v35
	v_sub_f16_e32 v85, v62, v71
	v_mul_f16_e32 v74, 0xb770, v104
	v_mul_f16_e32 v79, 0xba95, v84
	v_fma_f16 v27, v97, s4, -v78
	v_add_f16_e32 v80, v61, v72
	v_add_f16_e32 v99, v60, v34
	v_sub_f16_e32 v106, v60, v34
	v_mul_f16_e32 v75, 0xba95, v105
	v_mul_f16_e32 v82, 0xbbf1, v85
	v_fma_f16 v26, v77, s4, v74
	v_fma_f16 v87, v98, s5, -v79
	v_add_f16_e32 v27, v58, v27
	v_add_f16_e32 v81, v62, v71
	v_mul_f16_e32 v76, 0xbbf1, v106
	v_fma_f16 v86, v80, s5, v75
	v_fma_f16 v89, v99, s6, -v82
	v_add_f16_e32 v26, v22, v26
	v_add_f16_e32 v27, v87, v27
	v_sub_f16_e32 v107, v28, v33
	v_fma_f16 v88, v81, s6, v76
	v_add_f16_e32 v26, v86, v26
	v_add_f16_e32 v27, v89, v27
	;; [unrolled: 1-line block ×3, first 2 shown]
	v_mul_f16_e32 v86, 0xbb7b, v107
	v_sub_f16_e32 v93, v65, v70
	v_add_f16_e32 v26, v88, v26
	v_fma_f16 v87, v89, s7, v86
	v_add_f16_e32 v101, v28, v33
	v_mul_f16_e32 v88, 0xbb7b, v93
	v_add_f16_e32 v26, v87, v26
	v_fma_f16 v87, v101, s7, -v88
	v_sub_f16_e32 v108, v29, v32
	v_add_f16_e32 v27, v87, v27
	v_add_f16_e32 v92, v66, v69
	v_mul_f16_e32 v87, 0xb94e, v108
	v_sub_f16_e32 v96, v66, v69
	v_fma_f16 v90, v92, s14, v87
	v_add_f16_e32 v102, v29, v32
	v_mul_f16_e32 v91, 0xb94e, v96
	v_add_f16_e32 v26, v90, v26
	v_fma_f16 v90, v102, s14, -v91
	v_sub_f16_e32 v109, v30, v31
	v_add_f16_e32 v27, v90, v27
	v_add_f16_e32 v95, v67, v68
	v_mul_f16_e32 v90, 0xb3a8, v109
	v_fma_f16 v94, v95, s15, v90
	v_sub_f16_e32 v100, v67, v68
	v_add_f16_e32 v26, v94, v26
	v_add_f16_e32 v103, v30, v31
	v_mul_f16_e32 v94, 0xb3a8, v100
	v_fma_f16 v110, v103, s15, -v94
	v_add_f16_e32 v27, v110, v27
	s_and_saveexec_b64 s[0:1], vcc
	s_cbranch_execz .LBB0_5
; %bb.4:
	v_mul_f16_e32 v110, 0x388b, v97
	s_movk_i32 s24, 0x3a95
	v_fma_f16 v111, v83, s24, v110
	v_mul_f16_e32 v112, 0xb5ac, v98
	s_movk_i32 s22, 0x3b7b
	v_add_f16_e32 v111, v58, v111
	v_fma_f16 v113, v84, s22, v112
	v_add_f16_e32 v111, v113, v111
	v_mul_f16_e32 v113, 0xbbc4, v99
	s_movk_i32 s25, 0x33a8
	v_fma_f16 v114, v85, s25, v113
	v_add_f16_e32 v111, v114, v111
	v_mul_f16_e32 v114, 0xb9fd, v101
	v_fma_f16 v115, v93, s19, v114
	v_add_f16_e32 v111, v115, v111
	v_mul_f16_e32 v115, 0x2fb7, v102
	;; [unrolled: 3-line block ×4, first 2 shown]
	v_fma_f16 v118, v77, s5, v117
	v_mul_f16_e32 v119, 0xbb7b, v105
	v_add_f16_e32 v118, v22, v118
	v_fma_f16 v120, v80, s7, v119
	v_add_f16_e32 v118, v120, v118
	v_mul_f16_e32 v120, 0xb3a8, v106
	v_fma_f16 v121, v81, s15, v120
	v_add_f16_e32 v118, v121, v118
	v_mul_f16_e32 v121, 0x394e, v107
	;; [unrolled: 3-line block ×4, first 2 shown]
	v_fma_f16 v124, v95, s4, v123
	s_movk_i32 s23, 0x3bf1
	v_add_f16_e32 v118, v124, v118
	v_mul_f16_e32 v124, 0x2fb7, v97
	v_fma_f16 v125, v83, s23, v124
	v_mul_f16_e32 v126, 0xbbc4, v98
	v_add_f16_e32 v125, v58, v125
	v_fma_f16 v127, v84, s25, v126
	v_add_f16_e32 v125, v127, v125
	v_mul_f16_e32 v127, 0xb5ac, v99
	v_fma_f16 v128, v85, s17, v127
	v_add_f16_e32 v125, v128, v125
	v_mul_f16_e32 v128, 0x3b15, v101
	;; [unrolled: 3-line block ×3, first 2 shown]
	v_fma_f16 v130, v96, s24, v129
	s_movk_i32 s21, 0x394e
	v_add_f16_e32 v125, v130, v125
	v_mul_f16_e32 v130, 0xb9fd, v103
	v_fma_f16 v131, v100, s21, v130
	v_add_f16_e32 v125, v131, v125
	v_mul_f16_e32 v131, 0xbbf1, v104
	v_fma_f16 v132, v77, s6, v131
	v_mul_f16_e32 v133, 0xb3a8, v105
	v_add_f16_e32 v132, v22, v132
	v_fma_f16 v134, v80, s15, v133
	v_add_f16_e32 v132, v134, v132
	v_mul_f16_e32 v134, 0x3b7b, v106
	v_fma_f16 v135, v81, s7, v134
	v_add_f16_e32 v132, v135, v132
	v_mul_f16_e32 v135, 0x3770, v107
	v_fma_f16 v136, v89, s4, v135
	v_add_f16_e32 v132, v136, v132
	v_mul_f16_e32 v136, 0xba95, v108
	v_fma_f16 v137, v92, s5, v136
	v_add_f16_e32 v132, v137, v132
	v_mul_f16_e32 v137, 0xb94e, v109
	v_fma_f16 v138, v95, s14, v137
	v_add_f16_e32 v132, v138, v132
	v_mul_f16_e32 v138, 0xb5ac, v97
	v_fma_f16 v139, v83, s22, v138
	v_mul_f16_e32 v140, 0xb9fd, v98
	v_add_f16_e32 v139, v58, v139
	v_fma_f16 v141, v84, s19, v140
	v_add_f16_e32 v139, v141, v139
	v_mul_f16_e32 v141, 0x3b15, v99
	v_fma_f16 v142, v85, s26, v141
	v_add_f16_e32 v139, v142, v139
	v_mul_f16_e32 v142, 0x2fb7, v101
	v_fma_f16 v143, v93, s23, v142
	v_add_f16_e32 v139, v143, v139
	v_mul_f16_e32 v143, 0xbbc4, v102
	v_fma_f16 v144, v96, s18, v143
	;; [unrolled: 18-line block ×6, first 2 shown]
	v_add_f16_e32 v167, v172, v167
	v_mul_f16_e32 v172, 0x2fb7, v103
	v_fma_f16 v173, v100, s20, v172
	v_mul_f16_e32 v104, 0xb3a8, v104
	v_add_f16_e32 v167, v173, v167
	v_fma_f16 v173, v77, s15, v104
	v_mul_f16_e32 v105, 0x3770, v105
	v_fma_f16 v104, v77, s15, -v104
	v_fma_f16 v174, v80, s4, v105
	v_mul_f16_e32 v106, 0xb94e, v106
	v_add_f16_e32 v104, v22, v104
	v_fma_f16 v105, v80, s4, -v105
	v_mul_f16_e32 v107, 0x3a95, v107
	v_add_f16_e32 v104, v105, v104
	v_fma_f16 v105, v81, s14, -v106
	v_mul_f16_e32 v108, 0xbb7b, v108
	v_add_f16_e32 v104, v105, v104
	v_fma_f16 v105, v89, s5, -v107
	v_mul_f16_e32 v109, 0x3bf1, v109
	v_add_f16_e32 v104, v105, v104
	v_fma_f16 v105, v92, s7, -v108
	v_add_f16_e32 v104, v105, v104
	v_fma_f16 v105, v95, s6, -v109
	v_add_f16_e32 v173, v22, v173
	v_add_f16_e32 v104, v105, v104
	v_fma_f16 v105, v83, s19, v152
	v_add_f16_e32 v173, v174, v173
	v_fma_f16 v174, v81, s14, v106
	;; [unrolled: 2-line block ×4, first 2 shown]
	s_movk_i32 s26, 0x3770
	v_add_f16_e32 v105, v106, v105
	v_fma_f16 v106, v93, s25, v156
	v_fma_f16 v138, v83, s17, v138
	v_fma_f16 v124, v83, s20, v124
	v_add_f16_e32 v105, v106, v105
	v_fma_f16 v106, v96, s26, v157
	v_add_f16_e32 v138, v58, v138
	v_fma_f16 v140, v84, s21, v140
	;; [unrolled: 2-line block ×6, first 2 shown]
	v_add_f16_e32 v105, v106, v105
	v_fma_f16 v106, v77, s14, -v159
	v_add_f16_e32 v138, v141, v138
	v_fma_f16 v141, v93, s20, v142
	v_add_f16_e32 v124, v126, v124
	v_fma_f16 v126, v93, s26, v128
	;; [unrolled: 2-line block ×3, first 2 shown]
	v_add_f16_e32 v106, v22, v106
	v_fma_f16 v107, v80, s6, -v161
	v_add_f16_e32 v138, v141, v138
	v_fma_f16 v141, v96, s25, v143
	v_add_f16_e32 v124, v126, v124
	v_fma_f16 v126, v96, s16, v129
	v_add_f16_e32 v106, v107, v106
	v_mul_f16_e32 v107, 0x3b15, v77
	v_mul_f16_e32 v97, 0x3b15, v97
	v_add_f16_e32 v138, v141, v138
	v_fma_f16 v141, v100, s24, v144
	v_add_f16_e32 v124, v126, v124
	v_fma_f16 v126, v100, s19, v130
	v_fma_f16 v166, v83, s18, v166
	v_add_f16_e32 v138, v141, v138
	v_fma_f16 v141, v77, s7, -v145
	v_add_f16_e32 v124, v126, v124
	v_fma_f16 v126, v77, s6, -v131
	v_fma_f16 v83, v83, s16, v110
	v_fma_f16 v77, v77, s5, -v117
	v_add_f16_e32 v78, v78, v97
	v_sub_f16_e32 v74, v107, v74
	v_add_f16_e32 v166, v58, v166
	v_add_f16_e32 v141, v22, v141
	;; [unrolled: 1-line block ×18, first 2 shown]
	v_fma_f16 v174, v92, s7, v108
	v_fma_f16 v108, v81, s5, -v162
	v_add_f16_e32 v22, v22, v67
	v_add_f16_e32 v23, v23, v30
	;; [unrolled: 1-line block ×3, first 2 shown]
	v_fma_f16 v174, v95, s6, v109
	v_add_f16_e32 v106, v108, v106
	v_mul_f16_e32 v108, 0x388b, v80
	v_mul_f16_e32 v98, 0x388b, v98
	v_fma_f16 v109, v89, s15, -v163
	v_add_f16_e32 v22, v22, v68
	v_add_f16_e32 v23, v23, v31
	v_fma_f16 v168, v84, s26, v168
	v_add_f16_e32 v106, v109, v106
	v_mul_f16_e32 v109, 0x2fb7, v81
	v_mul_f16_e32 v99, 0x2fb7, v99
	v_fma_f16 v152, v92, s4, -v164
	v_fma_f16 v142, v80, s14, -v147
	;; [unrolled: 1-line block ×3, first 2 shown]
	v_fma_f16 v84, v84, s17, v112
	v_fma_f16 v80, v80, s7, -v119
	v_add_f16_e32 v79, v79, v98
	v_sub_f16_e32 v75, v108, v75
	v_add_f16_e32 v22, v22, v69
	v_add_f16_e32 v23, v23, v32
	;; [unrolled: 1-line block ×3, first 2 shown]
	v_mul_f16_e32 v152, 0xb5ac, v89
	v_mul_f16_e32 v101, 0xb5ac, v101
	v_fma_f16 v154, v95, s7, -v165
	v_add_f16_e32 v83, v84, v83
	v_fma_f16 v84, v85, s18, v113
	v_add_f16_e32 v77, v80, v77
	v_fma_f16 v80, v81, s15, -v120
	v_add_f16_e32 v78, v79, v78
	v_add_f16_e32 v79, v82, v99
	;; [unrolled: 1-line block ×3, first 2 shown]
	v_sub_f16_e32 v75, v109, v76
	v_add_f16_e32 v22, v22, v70
	v_add_f16_e32 v23, v23, v33
	;; [unrolled: 1-line block ×3, first 2 shown]
	v_mul_f16_e32 v154, 0xb9fd, v92
	v_mul_f16_e32 v102, 0xb9fd, v102
	v_add_f16_e32 v141, v142, v141
	v_fma_f16 v142, v81, s4, -v148
	v_add_f16_e32 v126, v127, v126
	v_fma_f16 v127, v81, s7, -v134
	v_add_f16_e32 v83, v84, v83
	v_fma_f16 v84, v93, s21, v114
	v_add_f16_e32 v77, v80, v77
	v_fma_f16 v80, v89, s14, -v121
	v_add_f16_e32 v78, v79, v78
	v_add_f16_e32 v79, v88, v101
	;; [unrolled: 1-line block ×3, first 2 shown]
	v_sub_f16_e32 v75, v152, v86
	v_add_f16_e32 v22, v22, v71
	v_add_f16_e32 v23, v23, v34
	;; [unrolled: 1-line block ×3, first 2 shown]
	v_fma_f16 v168, v85, s19, v169
	v_mul_f16_e32 v140, 0xbbc4, v95
	v_mul_f16_e32 v103, 0xbbc4, v103
	v_add_f16_e32 v141, v142, v141
	v_fma_f16 v142, v89, s6, -v149
	v_add_f16_e32 v126, v127, v126
	v_fma_f16 v127, v89, s4, -v135
	v_add_f16_e32 v83, v84, v83
	v_fma_f16 v84, v96, s23, v115
	v_add_f16_e32 v77, v80, v77
	v_fma_f16 v80, v92, s6, -v122
	v_add_f16_e32 v78, v79, v78
	v_add_f16_e32 v79, v91, v102
	;; [unrolled: 1-line block ×3, first 2 shown]
	v_sub_f16_e32 v75, v154, v87
	v_add_f16_e32 v22, v22, v72
	v_add_f16_e32 v23, v23, v35
	;; [unrolled: 1-line block ×3, first 2 shown]
	v_fma_f16 v168, v93, s24, v170
	v_add_f16_e32 v141, v142, v141
	v_fma_f16 v142, v92, s15, -v150
	v_add_f16_e32 v126, v127, v126
	v_fma_f16 v127, v92, s5, -v136
	v_add_f16_e32 v83, v84, v83
	v_fma_f16 v84, v100, s26, v116
	v_add_f16_e32 v77, v80, v77
	v_fma_f16 v80, v95, s4, -v123
	v_add_f16_e32 v78, v79, v78
	v_add_f16_e32 v79, v94, v103
	;; [unrolled: 1-line block ×3, first 2 shown]
	v_sub_f16_e32 v75, v140, v90
	v_add_f16_e32 v22, v22, v73
	v_add_f16_e32 v23, v23, v63
	;; [unrolled: 1-line block ×3, first 2 shown]
	v_fma_f16 v168, v96, s17, v171
	v_add_f16_e32 v141, v142, v141
	v_fma_f16 v142, v95, s5, -v151
	v_add_f16_e32 v126, v127, v126
	v_fma_f16 v127, v95, s14, -v137
	v_add_f16_e32 v83, v84, v83
	v_add_f16_e32 v77, v80, v77
	;; [unrolled: 1-line block ×4, first 2 shown]
	v_pack_b32_f16 v22, v22, v23
	v_add_f16_e32 v166, v168, v166
	v_fma_f16 v168, v100, s23, v172
	v_add_f16_e32 v141, v142, v141
	v_add_f16_e32 v126, v127, v126
	ds_write_b32 v41, v22
	v_lshl_add_u32 v22, v47, 2, v50
	v_pack_b32_f16 v23, v74, v78
	v_pack_b32_f16 v28, v77, v83
	v_add_f16_e32 v166, v168, v166
	ds_write2_b32 v22, v23, v28 offset0:12 offset1:24
	v_pack_b32_f16 v23, v126, v124
	v_pack_b32_f16 v28, v141, v138
	v_add_f16_e32 v173, v174, v173
	ds_write2_b32 v22, v23, v28 offset0:36 offset1:48
	v_pack_b32_f16 v23, v106, v105
	v_pack_b32_f16 v28, v104, v166
	ds_write2_b32 v22, v23, v28 offset0:60 offset1:72
	v_pack_b32_f16 v23, v173, v167
	v_pack_b32_f16 v28, v160, v153
	;; [unrolled: 3-line block ×3, first 2 shown]
	s_mov_b32 s4, 0x5040100
	ds_write2_b32 v22, v23, v28 offset0:108 offset1:120
	v_pack_b32_f16 v23, v118, v111
	v_perm_b32 v28, v27, v26, s4
	ds_write2_b32 v22, v23, v28 offset0:132 offset1:144
.LBB0_5:
	s_or_b64 exec, exec, s[0:1]
	s_waitcnt lgkmcnt(0)
	s_barrier
	global_load_dword v58, v[24:25], off offset:624
	s_add_u32 s0, s12, 0x270
	s_addc_u32 s1, s13, 0
	v_lshlrev_b32_e32 v22, 2, v47
	global_load_dword v59, v22, s[0:1] offset:208
	global_load_dword v60, v22, s[0:1] offset:416
	;; [unrolled: 1-line block ×11, first 2 shown]
	ds_read2_b32 v[22:23], v41 offset1:13
	ds_read2_b32 v[24:25], v41 offset0:52 offset1:65
	ds_read2_b32 v[28:29], v41 offset0:104 offset1:117
	;; [unrolled: 1-line block ×5, first 2 shown]
	s_waitcnt lgkmcnt(5)
	v_lshrrev_b32_e32 v70, 16, v22
	s_waitcnt lgkmcnt(4)
	v_lshrrev_b32_e32 v71, 16, v24
	;; [unrolled: 2-line block ×3, first 2 shown]
	v_lshrrev_b32_e32 v73, 16, v23
	v_lshrrev_b32_e32 v74, 16, v25
	;; [unrolled: 1-line block ×3, first 2 shown]
	s_waitcnt lgkmcnt(2)
	v_lshrrev_b32_e32 v76, 16, v30
	s_waitcnt lgkmcnt(1)
	v_lshrrev_b32_e32 v77, 16, v32
	;; [unrolled: 2-line block ×3, first 2 shown]
	v_lshrrev_b32_e32 v79, 16, v31
	s_movk_i32 s0, 0x3aee
	s_mov_b32 s1, 0xffff
	s_waitcnt vmcnt(8)
	v_mul_f16_sdwa v82, v73, v61 dst_sel:DWORD dst_unused:UNUSED_PAD src0_sel:DWORD src1_sel:WORD_1
	v_mul_f16_sdwa v83, v23, v61 dst_sel:DWORD dst_unused:UNUSED_PAD src0_sel:DWORD src1_sel:WORD_1
	s_waitcnt vmcnt(7)
	v_mul_f16_sdwa v84, v74, v62 dst_sel:DWORD dst_unused:UNUSED_PAD src0_sel:DWORD src1_sel:WORD_1
	v_mul_f16_sdwa v85, v25, v62 dst_sel:DWORD dst_unused:UNUSED_PAD src0_sel:DWORD src1_sel:WORD_1
	v_mul_f16_sdwa v80, v70, v58 dst_sel:DWORD dst_unused:UNUSED_PAD src0_sel:DWORD src1_sel:WORD_1
	v_mul_f16_sdwa v81, v22, v58 dst_sel:DWORD dst_unused:UNUSED_PAD src0_sel:DWORD src1_sel:WORD_1
	v_fma_f16 v22, v22, v58, -v80
	v_fma_f16 v58, v70, v58, v81
	v_pack_b32_f16 v22, v22, v58
	v_mul_f16_sdwa v58, v71, v59 dst_sel:DWORD dst_unused:UNUSED_PAD src0_sel:DWORD src1_sel:WORD_1
	v_mul_f16_sdwa v70, v24, v59 dst_sel:DWORD dst_unused:UNUSED_PAD src0_sel:DWORD src1_sel:WORD_1
	;; [unrolled: 1-line block ×4, first 2 shown]
	s_waitcnt vmcnt(6)
	v_mul_f16_sdwa v86, v75, v63 dst_sel:DWORD dst_unused:UNUSED_PAD src0_sel:DWORD src1_sel:WORD_1
	v_mul_f16_sdwa v87, v29, v63 dst_sel:DWORD dst_unused:UNUSED_PAD src0_sel:DWORD src1_sel:WORD_1
	s_waitcnt vmcnt(5)
	v_mul_f16_sdwa v88, v76, v64 dst_sel:DWORD dst_unused:UNUSED_PAD src0_sel:DWORD src1_sel:WORD_1
	v_mul_f16_sdwa v89, v30, v64 dst_sel:DWORD dst_unused:UNUSED_PAD src0_sel:DWORD src1_sel:WORD_1
	;; [unrolled: 3-line block ×5, first 2 shown]
	v_fma_f16 v24, v24, v59, -v58
	v_fma_f16 v58, v71, v59, v70
	v_fma_f16 v28, v28, v60, -v80
	v_fma_f16 v59, v72, v60, v81
	;; [unrolled: 2-line block ×9, first 2 shown]
	v_pack_b32_f16 v23, v23, v60
	v_pack_b32_f16 v24, v24, v58
	;; [unrolled: 1-line block ×6, first 2 shown]
	ds_write2_b32 v41, v22, v23 offset1:13
	ds_write2_b32 v41, v24, v25 offset0:52 offset1:65
	ds_write2_b32 v41, v28, v29 offset0:104 offset1:117
	v_pack_b32_f16 v22, v31, v66
	ds_write2_b32 v41, v30, v22 offset0:26 offset1:39
	v_lshrrev_b32_e32 v22, 16, v33
	v_mul_f16_sdwa v23, v22, v67 dst_sel:DWORD dst_unused:UNUSED_PAD src0_sel:DWORD src1_sel:WORD_1
	v_mul_f16_sdwa v24, v33, v67 dst_sel:DWORD dst_unused:UNUSED_PAD src0_sel:DWORD src1_sel:WORD_1
	v_fma_f16 v23, v33, v67, -v23
	v_fma_f16 v22, v22, v67, v24
	v_pack_b32_f16 v32, v32, v64
	v_pack_b32_f16 v22, v23, v22
	ds_write2_b32 v41, v32, v22 offset0:78 offset1:91
	v_lshrrev_b32_e32 v22, 16, v35
	s_waitcnt vmcnt(0)
	v_mul_f16_sdwa v23, v22, v69 dst_sel:DWORD dst_unused:UNUSED_PAD src0_sel:DWORD src1_sel:WORD_1
	v_mul_f16_sdwa v24, v35, v69 dst_sel:DWORD dst_unused:UNUSED_PAD src0_sel:DWORD src1_sel:WORD_1
	v_fma_f16 v23, v35, v69, -v23
	v_fma_f16 v22, v22, v69, v24
	v_pack_b32_f16 v34, v34, v65
	v_pack_b32_f16 v22, v23, v22
	ds_write2_b32 v41, v34, v22 offset0:130 offset1:143
	s_waitcnt lgkmcnt(0)
	s_barrier
	ds_read2_b32 v[22:23], v41 offset1:13
	ds_read2_b32 v[24:25], v41 offset0:52 offset1:65
	ds_read2_b32 v[28:29], v41 offset0:104 offset1:117
	s_waitcnt lgkmcnt(1)
	v_pk_add_f16 v30, v23, v25
	s_waitcnt lgkmcnt(0)
	v_pk_add_f16 v35, v30, v29
	v_pk_add_f16 v30, v25, v29
	v_pk_fma_f16 v23, v30, 0.5, v23 op_sel_hi:[1,0,1] neg_lo:[1,0,0] neg_hi:[1,0,0]
	v_pk_add_f16 v25, v25, v29 neg_lo:[0,1] neg_hi:[0,1]
	ds_read2_b32 v[29:30], v41 offset0:26 offset1:39
	ds_read2_b32 v[31:32], v41 offset0:78 offset1:91
	;; [unrolled: 1-line block ×3, first 2 shown]
	v_pk_mul_f16 v25, v25, s0 op_sel_hi:[1,0]
	v_pk_add_f16 v58, v23, v25 op_sel:[0,1] op_sel_hi:[1,0] neg_lo:[0,1] neg_hi:[0,1]
	v_pk_add_f16 v23, v23, v25 op_sel:[0,1] op_sel_hi:[1,0]
	v_bfi_b32 v25, s1, v58, v23
	s_waitcnt lgkmcnt(0)
	v_pk_add_f16 v59, v31, v33
	v_bfi_b32 v23, s1, v23, v58
	v_pk_add_f16 v58, v29, v31
	v_pk_fma_f16 v29, v59, 0.5, v29 op_sel_hi:[1,0,1] neg_lo:[1,0,0] neg_hi:[1,0,0]
	v_pk_add_f16 v59, v22, v24
	v_pk_add_f16 v60, v24, v28
	v_pk_add_f16 v24, v24, v28 neg_lo:[0,1] neg_hi:[0,1]
	v_pk_add_f16 v31, v31, v33 neg_lo:[0,1] neg_hi:[0,1]
	v_pk_fma_f16 v22, v60, 0.5, v22 op_sel_hi:[1,0,1] neg_lo:[1,0,0] neg_hi:[1,0,0]
	v_pk_mul_f16 v24, v24, s0 op_sel_hi:[1,0]
	v_pk_mul_f16 v31, v31, s0 op_sel_hi:[1,0]
	v_pk_add_f16 v59, v59, v28
	v_pk_add_f16 v28, v22, v24 op_sel:[0,1] op_sel_hi:[1,0] neg_lo:[0,1] neg_hi:[0,1]
	v_pk_add_f16 v22, v22, v24 op_sel:[0,1] op_sel_hi:[1,0]
	v_pk_add_f16 v58, v58, v33
	v_pk_add_f16 v33, v29, v31 op_sel:[0,1] op_sel_hi:[1,0] neg_lo:[0,1] neg_hi:[0,1]
	v_pk_add_f16 v29, v29, v31 op_sel:[0,1] op_sel_hi:[1,0]
	v_bfi_b32 v24, s1, v28, v22
	v_bfi_b32 v22, s1, v22, v28
	;; [unrolled: 1-line block ×4, first 2 shown]
	s_barrier
	ds_write2_b32 v51, v59, v24 offset1:1
	ds_write_b32 v51, v22 offset:8
	ds_write2_b32 v53, v35, v25 offset1:1
	ds_write_b32 v53, v23 offset:8
	;; [unrolled: 2-line block ×3, first 2 shown]
	v_pk_add_f16 v22, v32, v34
	v_pk_add_f16 v23, v32, v34 neg_lo:[0,1] neg_hi:[0,1]
	v_pk_fma_f16 v22, v22, 0.5, v30 op_sel_hi:[1,0,1] neg_lo:[1,0,0] neg_hi:[1,0,0]
	v_pk_mul_f16 v23, v23, s0 op_sel_hi:[1,0]
	v_pk_add_f16 v33, v30, v32
	v_pk_add_f16 v24, v22, v23 op_sel:[0,1] op_sel_hi:[1,0] neg_lo:[0,1] neg_hi:[0,1]
	v_pk_add_f16 v22, v22, v23 op_sel:[0,1] op_sel_hi:[1,0]
	v_pk_add_f16 v33, v33, v34
	v_bfi_b32 v23, s1, v24, v22
	v_bfi_b32 v22, s1, v22, v24
	ds_write2_b32 v52, v33, v23 offset1:1
	ds_write_b32 v52, v22 offset:8
	s_waitcnt lgkmcnt(0)
	s_barrier
	ds_read2_b32 v[22:23], v41 offset1:13
	ds_read2_b32 v[24:25], v41 offset0:26 offset1:39
	ds_read2_b32 v[28:29], v41 offset0:78 offset1:91
	ds_read2_b32 v[30:31], v41 offset0:104 offset1:117
	ds_read2_b32 v[32:33], v41 offset0:52 offset1:65
	ds_read2_b32 v[34:35], v41 offset0:130 offset1:143
	s_waitcnt lgkmcnt(4)
	v_lshrrev_b32_e32 v52, 16, v25
	v_mul_f16_sdwa v66, v12, v52 dst_sel:DWORD dst_unused:UNUSED_PAD src0_sel:WORD_1 src1_sel:DWORD
	s_waitcnt lgkmcnt(3)
	v_lshrrev_b32_e32 v53, 16, v28
	v_fma_f16 v66, v12, v25, v66
	v_mul_f16_sdwa v25, v12, v25 dst_sel:DWORD dst_unused:UNUSED_PAD src0_sel:WORD_1 src1_sel:DWORD
	v_fma_f16 v12, v12, v52, -v25
	v_mul_f16_sdwa v25, v13, v53 dst_sel:DWORD dst_unused:UNUSED_PAD src0_sel:WORD_1 src1_sel:DWORD
	s_waitcnt lgkmcnt(2)
	v_lshrrev_b32_e32 v54, 16, v31
	v_fma_f16 v25, v13, v28, v25
	v_mul_f16_sdwa v28, v13, v28 dst_sel:DWORD dst_unused:UNUSED_PAD src0_sel:WORD_1 src1_sel:DWORD
	v_fma_f16 v13, v13, v53, -v28
	;; [unrolled: 6-line block ×3, first 2 shown]
	v_mul_f16_sdwa v31, v15, v59 dst_sel:DWORD dst_unused:UNUSED_PAD src0_sel:WORD_1 src1_sel:DWORD
	v_lshrrev_b32_e32 v60, 16, v29
	v_fma_f16 v31, v15, v32, v31
	v_mul_f16_sdwa v32, v15, v32 dst_sel:DWORD dst_unused:UNUSED_PAD src0_sel:WORD_1 src1_sel:DWORD
	v_fma_f16 v15, v15, v59, -v32
	v_mul_f16_sdwa v32, v16, v60 dst_sel:DWORD dst_unused:UNUSED_PAD src0_sel:WORD_1 src1_sel:DWORD
	s_waitcnt lgkmcnt(0)
	v_lshrrev_b32_e32 v61, 16, v34
	v_fma_f16 v52, v16, v29, v32
	v_mul_f16_sdwa v29, v16, v29 dst_sel:DWORD dst_unused:UNUSED_PAD src0_sel:WORD_1 src1_sel:DWORD
	v_lshrrev_b32_e32 v63, 16, v33
	v_fma_f16 v16, v16, v60, -v29
	v_mul_f16_sdwa v29, v17, v61 dst_sel:DWORD dst_unused:UNUSED_PAD src0_sel:WORD_1 src1_sel:DWORD
	v_mul_f16_sdwa v32, v17, v34 dst_sel:DWORD dst_unused:UNUSED_PAD src0_sel:WORD_1 src1_sel:DWORD
	v_fma_f16 v29, v17, v34, v29
	v_fma_f16 v17, v17, v61, -v32
	v_mul_f16_sdwa v32, v18, v63 dst_sel:DWORD dst_unused:UNUSED_PAD src0_sel:WORD_1 src1_sel:DWORD
	v_lshrrev_b32_e32 v64, 16, v30
	v_fma_f16 v53, v18, v33, v32
	v_mul_f16_sdwa v32, v18, v33 dst_sel:DWORD dst_unused:UNUSED_PAD src0_sel:WORD_1 src1_sel:DWORD
	v_fma_f16 v54, v18, v63, -v32
	v_mul_f16_sdwa v18, v19, v64 dst_sel:DWORD dst_unused:UNUSED_PAD src0_sel:WORD_1 src1_sel:DWORD
	v_lshrrev_b32_e32 v51, 16, v22
	v_lshrrev_b32_e32 v65, 16, v35
	v_fma_f16 v59, v19, v30, v18
	v_mul_f16_sdwa v18, v19, v30 dst_sel:DWORD dst_unused:UNUSED_PAD src0_sel:WORD_1 src1_sel:DWORD
	v_fma_f16 v60, v19, v64, -v18
	v_mul_f16_sdwa v18, v20, v65 dst_sel:DWORD dst_unused:UNUSED_PAD src0_sel:WORD_1 src1_sel:DWORD
	v_sub_f16_e32 v25, v22, v25
	v_sub_f16_e32 v30, v51, v13
	;; [unrolled: 1-line block ×3, first 2 shown]
	v_fma_f16 v61, v20, v35, v18
	v_mul_f16_sdwa v18, v20, v35 dst_sel:DWORD dst_unused:UNUSED_PAD src0_sel:WORD_1 src1_sel:DWORD
	v_fma_f16 v13, v22, 2.0, -v25
	v_fma_f16 v19, v51, 2.0, -v30
	v_sub_f16_e32 v22, v66, v28
	v_fma_f16 v12, v12, 2.0, -v14
	v_fma_f16 v35, v20, v65, -v18
	v_fma_f16 v18, v66, 2.0, -v22
	v_sub_f16_e32 v33, v19, v12
	v_lshrrev_b32_e32 v58, 16, v23
	v_sub_f16_e32 v18, v13, v18
	v_fma_f16 v20, v19, 2.0, -v33
	v_add_f16_e32 v19, v25, v14
	v_fma_f16 v12, v13, 2.0, -v18
	v_sub_f16_e32 v32, v30, v22
	v_fma_f16 v13, v25, 2.0, -v19
	v_sub_f16_e32 v22, v23, v52
	v_sub_f16_e32 v25, v58, v16
	;; [unrolled: 1-line block ×3, first 2 shown]
	v_fma_f16 v16, v23, 2.0, -v22
	v_fma_f16 v23, v58, 2.0, -v25
	;; [unrolled: 1-line block ×3, first 2 shown]
	v_lshrrev_b32_e32 v62, 16, v24
	v_sub_f16_e32 v29, v31, v29
	v_sub_f16_e32 v28, v23, v15
	v_fma_f16 v34, v30, 2.0, -v32
	v_fma_f16 v14, v31, 2.0, -v29
	;; [unrolled: 1-line block ×3, first 2 shown]
	v_add_f16_e32 v15, v22, v17
	v_sub_f16_e32 v30, v25, v29
	v_sub_f16_e32 v23, v24, v59
	;; [unrolled: 1-line block ×6, first 2 shown]
	v_fma_f16 v17, v22, 2.0, -v15
	v_fma_f16 v29, v25, 2.0, -v30
	;; [unrolled: 1-line block ×6, first 2 shown]
	v_sub_f16_e32 v53, v51, v58
	v_pack_b32_f16 v54, v12, v20
	v_pack_b32_f16 v58, v13, v34
	v_fma_f16 v16, v16, 2.0, -v14
	v_sub_f16_e32 v52, v25, v35
	s_barrier
	ds_write2_b32 v55, v54, v58 offset1:3
	v_pack_b32_f16 v54, v18, v33
	v_pack_b32_f16 v58, v19, v32
	v_sub_f16_e32 v24, v22, v24
	v_fma_f16 v35, v25, 2.0, -v52
	v_add_f16_e32 v25, v23, v59
	ds_write2_b32 v55, v54, v58 offset0:6 offset1:9
	v_pack_b32_f16 v54, v16, v31
	v_pack_b32_f16 v55, v17, v29
	v_fma_f16 v22, v22, 2.0, -v24
	v_fma_f16 v23, v23, 2.0, -v25
	;; [unrolled: 1-line block ×3, first 2 shown]
	ds_write2_b32 v56, v54, v55 offset1:3
	v_pack_b32_f16 v54, v14, v28
	v_pack_b32_f16 v55, v15, v30
	ds_write2_b32 v56, v54, v55 offset0:6 offset1:9
	v_pack_b32_f16 v54, v22, v35
	v_pack_b32_f16 v55, v23, v51
	ds_write2_b32 v57, v54, v55 offset1:3
	v_pack_b32_f16 v54, v24, v52
	v_pack_b32_f16 v55, v25, v53
	ds_write2_b32 v57, v54, v55 offset0:6 offset1:9
	s_waitcnt lgkmcnt(0)
	s_barrier
	s_and_saveexec_b64 s[0:1], vcc
	s_cbranch_execz .LBB0_7
; %bb.6:
	ds_read2_b32 v[12:13], v41 offset1:12
	ds_read2_b32 v[18:19], v41 offset0:24 offset1:36
	ds_read2_b32 v[16:17], v41 offset0:48 offset1:60
	ds_read2_b32 v[14:15], v41 offset0:72 offset1:84
	ds_read2_b32 v[22:23], v41 offset0:96 offset1:108
	ds_read2_b32 v[24:25], v41 offset0:120 offset1:132
	ds_read_b32 v26, v41 offset:576
	s_waitcnt lgkmcnt(6)
	v_lshrrev_b32_e32 v20, 16, v12
	v_lshrrev_b32_e32 v34, 16, v13
	s_waitcnt lgkmcnt(5)
	v_lshrrev_b32_e32 v33, 16, v18
	v_lshrrev_b32_e32 v32, 16, v19
	;; [unrolled: 3-line block ×6, first 2 shown]
	s_waitcnt lgkmcnt(0)
	v_lshrrev_b32_e32 v27, 16, v26
.LBB0_7:
	s_or_b64 exec, exec, s[0:1]
	s_and_saveexec_b64 s[0:1], vcc
	s_cbranch_execz .LBB0_9
; %bb.8:
	v_mul_f16_sdwa v54, v4, v34 dst_sel:DWORD dst_unused:UNUSED_PAD src0_sel:WORD_1 src1_sel:DWORD
	v_mul_f16_sdwa v55, v11, v27 dst_sel:DWORD dst_unused:UNUSED_PAD src0_sel:WORD_1 src1_sel:DWORD
	v_fma_f16 v54, v4, v13, v54
	v_fma_f16 v55, v11, v26, v55
	v_mul_f16_sdwa v26, v11, v26 dst_sel:DWORD dst_unused:UNUSED_PAD src0_sel:WORD_1 src1_sel:DWORD
	v_mul_f16_sdwa v13, v4, v13 dst_sel:DWORD dst_unused:UNUSED_PAD src0_sel:WORD_1 src1_sel:DWORD
	v_fma_f16 v11, v11, v27, -v26
	v_fma_f16 v4, v4, v34, -v13
	v_mul_f16_sdwa v27, v5, v33 dst_sel:DWORD dst_unused:UNUSED_PAD src0_sel:WORD_1 src1_sel:DWORD
	v_mul_f16_sdwa v34, v10, v53 dst_sel:DWORD dst_unused:UNUSED_PAD src0_sel:WORD_1 src1_sel:DWORD
	v_sub_f16_e32 v56, v54, v55
	v_fma_f16 v27, v5, v18, v27
	v_fma_f16 v34, v10, v25, v34
	v_mul_f16_sdwa v25, v10, v25 dst_sel:DWORD dst_unused:UNUSED_PAD src0_sel:WORD_1 src1_sel:DWORD
	v_mul_f16_sdwa v18, v5, v18 dst_sel:DWORD dst_unused:UNUSED_PAD src0_sel:WORD_1 src1_sel:DWORD
	v_mul_f16_e32 v57, 0xba95, v56
	v_add_f16_e32 v13, v11, v4
	s_movk_i32 s4, 0x388b
	v_sub_f16_e32 v58, v27, v34
	v_fma_f16 v10, v10, v53, -v25
	v_fma_f16 v5, v5, v33, -v18
	v_fma_f16 v26, v13, s4, v57
	v_mul_f16_e32 v59, 0xbb7b, v58
	v_add_f16_e32 v18, v10, v5
	s_mov_b32 s6, 0xb5ac
	v_add_f16_e32 v26, v20, v26
	v_fma_f16 v25, v18, s6, v59
	v_add_f16_e32 v25, v25, v26
	v_mul_f16_sdwa v26, v6, v32 dst_sel:DWORD dst_unused:UNUSED_PAD src0_sel:WORD_1 src1_sel:DWORD
	v_mul_f16_sdwa v33, v9, v52 dst_sel:DWORD dst_unused:UNUSED_PAD src0_sel:WORD_1 src1_sel:DWORD
	v_fma_f16 v26, v6, v19, v26
	v_fma_f16 v33, v9, v24, v33
	v_mul_f16_sdwa v24, v9, v24 dst_sel:DWORD dst_unused:UNUSED_PAD src0_sel:WORD_1 src1_sel:DWORD
	v_mul_f16_sdwa v19, v6, v19 dst_sel:DWORD dst_unused:UNUSED_PAD src0_sel:WORD_1 src1_sel:DWORD
	v_sub_f16_e32 v53, v26, v33
	v_fma_f16 v9, v9, v52, -v24
	v_fma_f16 v6, v6, v32, -v19
	v_mul_f16_e32 v60, 0xb3a8, v53
	v_add_f16_e32 v19, v9, v6
	s_mov_b32 s12, 0xbbc4
	v_fma_f16 v24, v19, s12, v60
	v_add_f16_e32 v24, v24, v25
	v_mul_f16_sdwa v25, v7, v31 dst_sel:DWORD dst_unused:UNUSED_PAD src0_sel:WORD_1 src1_sel:DWORD
	v_mul_f16_sdwa v32, v8, v51 dst_sel:DWORD dst_unused:UNUSED_PAD src0_sel:WORD_1 src1_sel:DWORD
	v_fma_f16 v25, v7, v16, v25
	v_fma_f16 v32, v8, v23, v32
	v_mul_f16_sdwa v23, v8, v23 dst_sel:DWORD dst_unused:UNUSED_PAD src0_sel:WORD_1 src1_sel:DWORD
	v_mul_f16_sdwa v16, v7, v16 dst_sel:DWORD dst_unused:UNUSED_PAD src0_sel:WORD_1 src1_sel:DWORD
	v_sub_f16_e32 v52, v25, v32
	v_fma_f16 v8, v8, v51, -v23
	v_fma_f16 v7, v7, v31, -v16
	v_mul_f16_e32 v61, 0x394e, v52
	v_add_f16_e32 v16, v8, v7
	v_fma_f16 v23, v16, s14, v61
	v_add_f16_e32 v23, v23, v24
	v_mul_f16_sdwa v24, v0, v29 dst_sel:DWORD dst_unused:UNUSED_PAD src0_sel:WORD_1 src1_sel:DWORD
	v_mul_f16_sdwa v31, v3, v35 dst_sel:DWORD dst_unused:UNUSED_PAD src0_sel:WORD_1 src1_sel:DWORD
	v_fma_f16 v24, v0, v17, v24
	v_fma_f16 v31, v3, v22, v31
	v_mul_f16_sdwa v22, v3, v22 dst_sel:DWORD dst_unused:UNUSED_PAD src0_sel:WORD_1 src1_sel:DWORD
	v_mul_f16_sdwa v17, v0, v17 dst_sel:DWORD dst_unused:UNUSED_PAD src0_sel:WORD_1 src1_sel:DWORD
	v_sub_f16_e32 v51, v24, v31
	v_fma_f16 v3, v3, v35, -v22
	v_fma_f16 v0, v0, v29, -v17
	v_mul_f16_e32 v62, 0x3bf1, v51
	v_add_f16_e32 v17, v3, v0
	s_movk_i32 s15, 0x2fb7
	v_fma_f16 v22, v17, s15, v62
	v_add_f16_e32 v22, v22, v23
	v_mul_f16_sdwa v23, v1, v28 dst_sel:DWORD dst_unused:UNUSED_PAD src0_sel:WORD_1 src1_sel:DWORD
	v_mul_f16_sdwa v29, v2, v30 dst_sel:DWORD dst_unused:UNUSED_PAD src0_sel:WORD_1 src1_sel:DWORD
	v_fma_f16 v23, v1, v14, v23
	v_fma_f16 v29, v2, v15, v29
	v_mul_f16_sdwa v15, v2, v15 dst_sel:DWORD dst_unused:UNUSED_PAD src0_sel:WORD_1 src1_sel:DWORD
	v_mul_f16_sdwa v14, v1, v14 dst_sel:DWORD dst_unused:UNUSED_PAD src0_sel:WORD_1 src1_sel:DWORD
	v_sub_f16_e32 v35, v23, v29
	v_fma_f16 v2, v2, v30, -v15
	v_fma_f16 v1, v1, v28, -v14
	v_mul_f16_e32 v63, 0x3770, v35
	v_add_f16_e32 v14, v2, v1
	s_movk_i32 s16, 0x3b15
	v_fma_f16 v15, v14, s16, v63
	v_sub_f16_e32 v28, v4, v11
	v_add_f16_e32 v15, v15, v22
	v_add_f16_e32 v22, v55, v54
	v_mul_f16_e32 v30, 0xba95, v28
	v_sub_f16_e32 v66, v5, v10
	v_fma_f16 v64, v22, s4, -v30
	v_add_f16_e32 v65, v34, v27
	v_mul_f16_e32 v67, 0xbb7b, v66
	v_add_f16_e32 v64, v12, v64
	v_fma_f16 v68, v65, s6, -v67
	v_sub_f16_e32 v69, v6, v9
	v_add_f16_e32 v64, v68, v64
	v_add_f16_e32 v68, v33, v26
	v_mul_f16_e32 v70, 0xb3a8, v69
	v_fma_f16 v71, v68, s12, -v70
	v_sub_f16_e32 v72, v7, v8
	v_add_f16_e32 v64, v71, v64
	v_add_f16_e32 v71, v32, v25
	v_mul_f16_e32 v73, 0x394e, v72
	;; [unrolled: 5-line block ×4, first 2 shown]
	v_fma_f16 v80, v77, s16, -v79
	v_add_f16_e32 v64, v80, v64
	v_mul_f16_e32 v80, 0xbbf1, v56
	v_fma_f16 v81, v13, s15, v80
	v_mul_f16_e32 v82, 0xb3a8, v58
	v_add_f16_e32 v81, v20, v81
	v_fma_f16 v83, v18, s12, v82
	v_add_f16_e32 v81, v83, v81
	v_mul_f16_e32 v83, 0x3b7b, v53
	v_fma_f16 v84, v19, s6, v83
	v_add_f16_e32 v81, v84, v81
	v_mul_f16_e32 v84, 0x3770, v52
	;; [unrolled: 3-line block ×5, first 2 shown]
	v_fma_f16 v88, v22, s15, -v87
	v_mul_f16_e32 v89, 0xb3a8, v66
	v_add_f16_e32 v88, v12, v88
	v_fma_f16 v90, v65, s12, -v89
	v_add_f16_e32 v88, v90, v88
	v_mul_f16_e32 v90, 0x3b7b, v69
	v_fma_f16 v91, v68, s6, -v90
	v_add_f16_e32 v88, v91, v88
	v_mul_f16_e32 v91, 0x3770, v72
	;; [unrolled: 3-line block ×5, first 2 shown]
	v_fma_f16 v95, v13, s6, v94
	v_mul_f16_e32 v96, 0x394e, v58
	v_add_f16_e32 v95, v20, v95
	v_fma_f16 v97, v18, s14, v96
	v_add_f16_e32 v95, v97, v95
	v_mul_f16_e32 v97, 0x3770, v53
	v_fma_f16 v98, v19, s16, v97
	v_add_f16_e32 v95, v98, v95
	v_mul_f16_e32 v98, 0xbbf1, v52
	;; [unrolled: 3-line block ×5, first 2 shown]
	v_fma_f16 v102, v22, s6, -v101
	v_mul_f16_e32 v103, 0x394e, v66
	v_add_f16_e32 v102, v12, v102
	v_fma_f16 v104, v65, s14, -v103
	v_add_f16_e32 v102, v104, v102
	v_mul_f16_e32 v104, 0x3770, v69
	v_fma_f16 v105, v68, s16, -v104
	v_add_f16_e32 v102, v105, v102
	v_mul_f16_e32 v105, 0xbbf1, v72
	;; [unrolled: 3-line block ×5, first 2 shown]
	v_fma_f16 v109, v13, s14, v108
	v_mul_f16_e32 v110, 0x3bf1, v58
	v_add_f16_e32 v109, v20, v109
	v_fma_f16 v111, v18, s15, v110
	v_add_f16_e32 v109, v111, v109
	v_mul_f16_e32 v111, 0xba95, v53
	v_fma_f16 v112, v19, s4, v111
	v_add_f16_e32 v109, v112, v109
	v_mul_f16_e32 v112, 0x33a8, v52
	;; [unrolled: 3-line block ×5, first 2 shown]
	v_fma_f16 v116, v22, s14, -v115
	v_mul_f16_e32 v117, 0x3bf1, v66
	v_add_f16_e32 v116, v12, v116
	v_fma_f16 v118, v65, s15, -v117
	v_add_f16_e32 v116, v118, v116
	v_mul_f16_e32 v118, 0xba95, v69
	v_fma_f16 v119, v68, s4, -v118
	v_add_f16_e32 v116, v119, v116
	v_mul_f16_e32 v119, 0x33a8, v72
	v_fma_f16 v120, v71, s12, -v119
	v_fma_f16 v57, v13, s4, -v57
	v_add_f16_e32 v116, v120, v116
	v_mul_f16_e32 v120, 0x3770, v75
	v_add_f16_e32 v57, v20, v57
	v_fma_f16 v59, v18, s6, -v59
	v_fma_f16 v121, v74, s16, -v120
	v_add_f16_e32 v57, v59, v57
	v_fma_f16 v59, v19, s12, -v60
	v_add_f16_e32 v116, v121, v116
	v_mul_f16_e32 v121, 0xbb7b, v78
	v_add_f16_e32 v57, v59, v57
	v_fma_f16 v59, v16, s14, -v61
	v_fma_f16 v122, v77, s6, -v121
	v_add_f16_e32 v57, v59, v57
	v_fma_f16 v59, v17, s15, -v62
	v_add_f16_e32 v116, v122, v116
	v_mul_f16_e32 v122, 0xb3a8, v56
	v_add_f16_e32 v57, v59, v57
	v_fma_f16 v59, v14, s16, -v63
	v_fma_f16 v30, v22, s4, v30
	v_fma_f16 v123, v13, s12, v122
	v_mul_f16_e32 v124, 0x3770, v58
	v_add_f16_e32 v57, v59, v57
	v_add_f16_e32 v30, v12, v30
	v_fma_f16 v59, v65, s6, v67
	v_add_f16_e32 v123, v20, v123
	v_fma_f16 v125, v18, s16, v124
	;; [unrolled: 2-line block ×3, first 2 shown]
	v_add_f16_e32 v123, v125, v123
	v_mul_f16_e32 v125, 0xb94e, v53
	v_add_f16_e32 v30, v59, v30
	v_fma_f16 v59, v71, s14, v73
	v_fma_f16 v126, v19, s14, v125
	v_add_f16_e32 v30, v59, v30
	v_fma_f16 v59, v74, s15, v76
	s_movk_i32 s21, 0x3770
	v_add_f16_e32 v123, v126, v123
	v_mul_f16_e32 v126, 0x3a95, v52
	v_fma_f16 v122, v13, s12, -v122
	v_fma_f16 v108, v13, s14, -v108
	;; [unrolled: 1-line block ×4, first 2 shown]
	v_add_f16_e32 v30, v59, v30
	v_fma_f16 v59, v77, s16, v79
	v_mul_f16_e32 v13, 0x3b15, v13
	s_movk_i32 s24, 0x3a95
	v_fma_f16 v127, v16, s4, v126
	v_add_f16_e32 v122, v20, v122
	v_fma_f16 v124, v18, s16, -v124
	v_add_f16_e32 v108, v20, v108
	v_fma_f16 v110, v18, s15, -v110
	;; [unrolled: 2-line block ×4, first 2 shown]
	v_add_f16_e32 v30, v59, v30
	v_fma_f16 v59, v56, s21, v13
	v_mul_f16_e32 v18, 0x388b, v18
	v_add_f16_e32 v4, v4, v20
	s_movk_i32 s19, 0x3bf1
	v_add_f16_e32 v123, v127, v123
	v_mul_f16_e32 v127, 0xbb7b, v51
	v_add_f16_e32 v122, v124, v122
	v_fma_f16 v124, v19, s14, -v125
	v_add_f16_e32 v108, v110, v108
	v_fma_f16 v110, v19, s4, -v111
	;; [unrolled: 2-line block ×4, first 2 shown]
	v_add_f16_e32 v59, v20, v59
	v_fma_f16 v60, v58, s24, v18
	v_mul_f16_e32 v19, 0x2fb7, v19
	v_add_f16_e32 v4, v5, v4
	s_movk_i32 s22, 0x3b7b
	v_fma_f16 v128, v17, s6, v127
	v_add_f16_e32 v122, v124, v122
	v_fma_f16 v124, v16, s4, -v126
	v_add_f16_e32 v108, v110, v108
	v_fma_f16 v110, v16, s12, -v112
	;; [unrolled: 2-line block ×4, first 2 shown]
	v_add_f16_e32 v59, v60, v59
	v_fma_f16 v60, v53, s19, v19
	v_mul_f16_e32 v16, 0xb5ac, v16
	v_add_f16_e32 v4, v6, v4
	s_movk_i32 s17, 0x394e
	v_add_f16_e32 v123, v128, v123
	v_mul_f16_e32 v128, 0x3bf1, v35
	v_add_f16_e32 v122, v124, v122
	v_fma_f16 v124, v17, s6, -v127
	v_add_f16_e32 v108, v110, v108
	v_fma_f16 v110, v17, s16, -v113
	;; [unrolled: 2-line block ×4, first 2 shown]
	v_add_f16_e32 v59, v60, v59
	v_fma_f16 v60, v52, s22, v16
	v_mul_f16_e32 v17, 0xb9fd, v17
	v_add_f16_e32 v4, v7, v4
	s_movk_i32 s23, 0x33a8
	v_fma_f16 v129, v14, s15, v128
	v_add_f16_e32 v122, v124, v122
	v_fma_f16 v124, v14, s15, -v128
	v_add_f16_e32 v108, v110, v108
	v_fma_f16 v110, v14, s6, -v114
	;; [unrolled: 2-line block ×4, first 2 shown]
	v_add_f16_e32 v59, v60, v59
	v_fma_f16 v60, v51, s17, v17
	v_mul_f16_e32 v14, 0xbbc4, v14
	s_mov_b32 s17, 0xb770
	v_add_f16_e32 v54, v12, v54
	v_add_f16_e32 v0, v0, v4
	s_mov_b32 s5, 0xba95
	v_add_f16_e32 v123, v129, v123
	v_mul_f16_e32 v129, 0xb3a8, v28
	v_add_f16_e32 v59, v60, v59
	v_fma_f16 v60, v35, s23, v14
	v_mul_f16_e32 v28, 0xb770, v28
	v_add_f16_e32 v27, v27, v54
	v_add_f16_e32 v0, v1, v0
	v_fma_f16 v1, v56, s17, v13
	s_mov_b32 s18, 0xbbf1
	v_add_f16_e32 v59, v60, v59
	v_fma_f16 v60, v22, s16, v28
	v_mul_f16_e32 v61, 0xba95, v66
	v_add_f16_e32 v26, v26, v27
	v_add_f16_e32 v0, v2, v0
	v_add_f16_e32 v1, v20, v1
	v_fma_f16 v2, v58, s5, v18
	s_mov_b32 s7, 0xbb7b
	v_add_f16_e32 v60, v12, v60
	v_fma_f16 v62, v65, s4, v61
	v_add_f16_e32 v25, v25, v26
	v_add_f16_e32 v1, v2, v1
	v_fma_f16 v2, v53, s18, v19
	s_mov_b32 s20, 0xb94e
	v_fma_f16 v130, v22, s12, -v129
	v_mul_f16_e32 v131, 0x3770, v66
	v_add_f16_e32 v60, v62, v60
	v_mul_f16_e32 v62, 0xbbf1, v69
	v_add_f16_e32 v24, v24, v25
	v_add_f16_e32 v1, v2, v1
	v_fma_f16 v2, v52, s7, v16
	s_mov_b32 s13, 0xb3a8
	v_add_f16_e32 v130, v12, v130
	v_fma_f16 v132, v65, s16, -v131
	v_fma_f16 v63, v68, s15, v62
	v_add_f16_e32 v23, v23, v24
	v_add_f16_e32 v1, v2, v1
	v_fma_f16 v2, v51, s20, v17
	v_add_f16_e32 v130, v132, v130
	v_mul_f16_e32 v132, 0xb94e, v69
	v_add_f16_e32 v60, v63, v60
	v_mul_f16_e32 v63, 0xbb7b, v72
	v_add_f16_e32 v23, v29, v23
	v_add_f16_e32 v1, v2, v1
	v_fma_f16 v2, v35, s13, v14
	v_fma_f16 v133, v68, s14, -v132
	v_add_f16_e32 v94, v96, v94
	v_fma_f16 v96, v22, s6, v101
	v_add_f16_e32 v80, v82, v80
	v_fma_f16 v82, v22, s15, v87
	v_fma_f16 v66, v71, s6, v63
	v_add_f16_e32 v23, v31, v23
	v_add_f16_e32 v0, v3, v0
	;; [unrolled: 1-line block ×3, first 2 shown]
	v_fma_f16 v2, v22, s16, -v28
	v_add_f16_e32 v130, v133, v130
	v_mul_f16_e32 v133, 0x3a95, v72
	v_add_f16_e32 v122, v124, v122
	v_fma_f16 v124, v22, s12, v129
	v_add_f16_e32 v108, v110, v108
	v_fma_f16 v110, v22, s14, v115
	;; [unrolled: 2-line block ×4, first 2 shown]
	v_add_f16_e32 v60, v66, v60
	v_mul_f16_e32 v66, 0xb94e, v75
	v_add_f16_e32 v23, v32, v23
	v_add_f16_e32 v0, v8, v0
	;; [unrolled: 1-line block ×3, first 2 shown]
	v_fma_f16 v3, v65, s4, -v61
	v_fma_f16 v134, v71, s4, -v133
	v_add_f16_e32 v124, v12, v124
	v_fma_f16 v125, v65, s16, v131
	v_add_f16_e32 v110, v12, v110
	v_fma_f16 v111, v65, s15, v117
	;; [unrolled: 2-line block ×4, first 2 shown]
	v_fma_f16 v67, v74, s14, v66
	v_add_f16_e32 v23, v33, v23
	v_add_f16_e32 v0, v9, v0
	;; [unrolled: 1-line block ×3, first 2 shown]
	v_fma_f16 v3, v68, s15, -v62
	v_add_f16_e32 v130, v134, v130
	v_mul_f16_e32 v134, 0xbb7b, v75
	v_add_f16_e32 v124, v125, v124
	v_fma_f16 v125, v68, s14, v132
	v_add_f16_e32 v110, v111, v110
	v_fma_f16 v111, v68, s4, v118
	v_add_f16_e32 v96, v97, v96
	v_fma_f16 v97, v71, s15, v105
	v_add_f16_e32 v82, v83, v82
	v_fma_f16 v83, v71, s16, v91
	v_add_f16_e32 v60, v67, v60
	v_mul_f16_e32 v67, 0xb3a8, v78
	v_add_f16_e32 v23, v34, v23
	v_add_f16_e32 v0, v10, v0
	;; [unrolled: 1-line block ×3, first 2 shown]
	v_fma_f16 v3, v71, s6, -v63
	v_fma_f16 v135, v74, s6, -v134
	v_add_f16_e32 v124, v125, v124
	v_fma_f16 v125, v71, s4, v133
	v_add_f16_e32 v110, v111, v110
	v_fma_f16 v111, v71, s12, v119
	;; [unrolled: 2-line block ×4, first 2 shown]
	v_fma_f16 v69, v77, s12, v67
	v_add_f16_e32 v23, v55, v23
	v_add_f16_e32 v0, v11, v0
	;; [unrolled: 1-line block ×3, first 2 shown]
	v_fma_f16 v3, v74, s14, -v66
	v_add_f16_e32 v130, v135, v130
	v_mul_f16_e32 v135, 0x3bf1, v78
	v_add_f16_e32 v124, v125, v124
	v_fma_f16 v125, v74, s6, v134
	v_add_f16_e32 v110, v111, v110
	v_fma_f16 v111, v74, s16, v120
	;; [unrolled: 2-line block ×4, first 2 shown]
	v_add_f16_e32 v60, v69, v60
	v_add_f16_e32 v2, v3, v2
	v_fma_f16 v3, v77, s12, -v67
	v_pack_b32_f16 v0, v23, v0
	v_add_f16_e32 v124, v125, v124
	v_fma_f16 v125, v77, s15, v135
	v_add_f16_e32 v110, v111, v110
	v_fma_f16 v111, v77, s6, v121
	v_add_f16_e32 v96, v97, v96
	v_add_f16_e32 v82, v83, v82
	;; [unrolled: 1-line block ×3, first 2 shown]
	ds_write_b32 v41, v0
	v_lshl_add_u32 v0, v47, 2, v50
	v_pack_b32_f16 v3, v60, v59
	v_pack_b32_f16 v4, v30, v57
	v_fma_f16 v136, v77, s15, -v135
	v_add_f16_e32 v124, v125, v124
	v_add_f16_e32 v110, v111, v110
	ds_write2_b32 v0, v3, v4 offset0:12 offset1:24
	v_pack_b32_f16 v3, v82, v80
	v_pack_b32_f16 v4, v96, v94
	v_add_f16_e32 v130, v136, v130
	ds_write2_b32 v0, v3, v4 offset0:36 offset1:48
	v_pack_b32_f16 v3, v110, v108
	v_pack_b32_f16 v4, v124, v122
	ds_write2_b32 v0, v3, v4 offset0:60 offset1:72
	v_pack_b32_f16 v3, v130, v123
	v_pack_b32_f16 v4, v116, v109
	;; [unrolled: 3-line block ×4, first 2 shown]
	ds_write2_b32 v0, v3, v1 offset0:132 offset1:144
.LBB0_9:
	s_or_b64 exec, exec, s[0:1]
	s_waitcnt lgkmcnt(0)
	s_barrier
	ds_read2_b32 v[0:1], v41 offset1:13
	s_mov_b32 s4, 0x1a41a41a
	s_mov_b32 s5, 0x3f7a41a4
	v_mad_u64_u32 v[4:5], s[0:1], s10, v21, 0
	s_waitcnt lgkmcnt(0)
	v_lshrrev_b32_e32 v7, 16, v0
	v_mul_f16_sdwa v2, v49, v7 dst_sel:DWORD dst_unused:UNUSED_PAD src0_sel:WORD_1 src1_sel:DWORD
	v_fma_f16 v2, v49, v0, v2
	v_cvt_f32_f16_e32 v2, v2
	s_movk_i32 s6, 0x1ff
	v_mad_u64_u32 v[5:6], s[0:1], s11, v21, v[5:6]
	v_cvt_f64_f32_e32 v[2:3], v2
	s_movk_i32 s7, 0xffe
	v_mul_f16_sdwa v0, v49, v0 dst_sel:DWORD dst_unused:UNUSED_PAD src0_sel:WORD_1 src1_sel:DWORD
	v_fma_f16 v0, v49, v7, -v0
	v_mul_f64 v[2:3], v[2:3], s[4:5]
	v_cvt_f32_f16_e32 v7, v0
	v_mov_b32_e32 v0, 0x7c00
	s_movk_i32 s10, 0x40f
	s_mov_b32 s11, 0x8000
	v_and_or_b32 v2, v3, s6, v2
	v_cmp_ne_u32_e32 vcc, 0, v2
	v_lshrrev_b32_e32 v6, 8, v3
	v_bfe_u32 v8, v3, 20, 11
	v_cndmask_b32_e64 v2, 0, 1, vcc
	v_and_or_b32 v2, v6, s7, v2
	v_sub_u32_e32 v9, 0x3f1, v8
	v_or_b32_e32 v6, 0x1000, v2
	v_med3_i32 v9, v9, 0, 13
	v_lshrrev_b32_e32 v10, v9, v6
	v_lshlrev_b32_e32 v9, v9, v10
	v_cmp_ne_u32_e32 vcc, v9, v6
	v_cndmask_b32_e64 v6, 0, 1, vcc
	v_add_u32_e32 v8, 0xfffffc10, v8
	v_or_b32_e32 v6, v10, v6
	v_lshl_or_b32 v9, v8, 12, v2
	v_cmp_gt_i32_e32 vcc, 1, v8
	v_cndmask_b32_e32 v6, v9, v6, vcc
	v_and_b32_e32 v9, 7, v6
	v_cmp_lt_i32_e32 vcc, 5, v9
	v_cmp_eq_u32_e64 s[0:1], 3, v9
	v_lshrrev_b32_e32 v6, 2, v6
	s_or_b64 vcc, s[0:1], vcc
	v_addc_co_u32_e32 v9, vcc, 0, v6, vcc
	v_cvt_f64_f32_e32 v[6:7], v7
	v_cmp_gt_i32_e32 vcc, 31, v8
	v_cndmask_b32_e32 v9, v0, v9, vcc
	v_cmp_ne_u32_e32 vcc, 0, v2
	v_mul_f64 v[6:7], v[6:7], s[4:5]
	v_cndmask_b32_e64 v2, 0, 1, vcc
	v_lshl_or_b32 v2, v2, 9, v0
	v_cmp_eq_u32_e32 vcc, s10, v8
	v_cndmask_b32_e32 v2, v9, v2, vcc
	v_lshrrev_b32_e32 v3, 16, v3
	v_and_or_b32 v10, v3, s11, v2
	v_and_b32_e32 v10, 0xffff, v10
	v_and_or_b32 v2, v7, s6, v6
	v_cmp_ne_u32_e32 vcc, 0, v2
	v_cndmask_b32_e64 v2, 0, 1, vcc
	v_lshrrev_b32_e32 v3, 8, v7
	v_bfe_u32 v6, v7, 20, 11
	v_and_or_b32 v2, v3, s7, v2
	v_sub_u32_e32 v8, 0x3f1, v6
	v_or_b32_e32 v3, 0x1000, v2
	v_med3_i32 v8, v8, 0, 13
	v_lshrrev_b32_e32 v9, v8, v3
	v_lshlrev_b32_e32 v8, v8, v9
	v_cmp_ne_u32_e32 vcc, v8, v3
	v_cndmask_b32_e64 v3, 0, 1, vcc
	v_add_u32_e32 v6, 0xfffffc10, v6
	v_or_b32_e32 v3, v9, v3
	v_lshl_or_b32 v8, v6, 12, v2
	v_cmp_gt_i32_e32 vcc, 1, v6
	v_cndmask_b32_e32 v3, v8, v3, vcc
	v_and_b32_e32 v8, 7, v3
	v_cmp_lt_i32_e32 vcc, 5, v8
	v_cmp_eq_u32_e64 s[0:1], 3, v8
	v_lshrrev_b32_e32 v3, 2, v3
	s_or_b64 vcc, s[0:1], vcc
	v_addc_co_u32_e32 v3, vcc, 0, v3, vcc
	v_cmp_gt_i32_e32 vcc, 31, v6
	v_cndmask_b32_e32 v3, v0, v3, vcc
	v_cmp_ne_u32_e32 vcc, 0, v2
	v_cndmask_b32_e64 v2, 0, 1, vcc
	v_cmp_eq_u32_e32 vcc, s10, v6
	v_lshrrev_b32_e32 v9, 16, v7
	ds_read2_b32 v[6:7], v41 offset0:52 offset1:65
	v_lshl_or_b32 v2, v2, 9, v0
	v_cndmask_b32_e32 v8, v3, v2, vcc
	v_mad_u64_u32 v[2:3], s[0:1], s8, v47, 0
	s_waitcnt lgkmcnt(0)
	v_lshrrev_b32_e32 v12, 16, v6
	v_and_or_b32 v11, v9, s11, v8
	v_mad_u64_u32 v[8:9], s[0:1], s9, v47, v[3:4]
	v_mul_f16_sdwa v3, v48, v12 dst_sel:DWORD dst_unused:UNUSED_PAD src0_sel:WORD_1 src1_sel:DWORD
	v_fma_f16 v3, v48, v6, v3
	v_cvt_f32_f16_e32 v9, v3
	v_mov_b32_e32 v3, v8
	v_lshlrev_b64 v[4:5], 2, v[4:5]
	v_lshl_or_b32 v10, v11, 16, v10
	v_cvt_f64_f32_e32 v[8:9], v9
	v_mov_b32_e32 v11, s3
	v_add_co_u32_e32 v4, vcc, s2, v4
	v_mul_f64 v[8:9], v[8:9], s[4:5]
	v_lshlrev_b64 v[2:3], 2, v[2:3]
	v_addc_co_u32_e32 v5, vcc, v11, v5, vcc
	v_add_co_u32_e32 v2, vcc, v4, v2
	v_addc_co_u32_e32 v3, vcc, v5, v3, vcc
	v_and_or_b32 v4, v9, s6, v8
	v_cmp_ne_u32_e32 vcc, 0, v4
	v_cndmask_b32_e64 v4, 0, 1, vcc
	v_lshrrev_b32_e32 v5, 8, v9
	v_and_or_b32 v8, v5, s7, v4
	v_bfe_u32 v5, v9, 20, 11
	global_store_dword v[2:3], v10, off
	v_sub_u32_e32 v10, 0x3f1, v5
	v_or_b32_e32 v4, 0x1000, v8
	v_med3_i32 v10, v10, 0, 13
	v_lshrrev_b32_e32 v11, v10, v4
	v_lshlrev_b32_e32 v10, v10, v11
	v_mul_f16_sdwa v6, v48, v6 dst_sel:DWORD dst_unused:UNUSED_PAD src0_sel:WORD_1 src1_sel:DWORD
	v_cmp_ne_u32_e32 vcc, v10, v4
	v_fma_f16 v6, v48, v12, -v6
	v_cndmask_b32_e64 v4, 0, 1, vcc
	v_add_u32_e32 v10, 0xfffffc10, v5
	v_cvt_f32_f16_e32 v6, v6
	v_or_b32_e32 v4, v11, v4
	v_lshl_or_b32 v5, v10, 12, v8
	v_cmp_gt_i32_e32 vcc, 1, v10
	v_cndmask_b32_e32 v4, v5, v4, vcc
	v_and_b32_e32 v5, 7, v4
	v_cmp_lt_i32_e32 vcc, 5, v5
	v_cmp_eq_u32_e64 s[0:1], 3, v5
	v_lshrrev_b32_e32 v11, 2, v4
	v_cvt_f64_f32_e32 v[4:5], v6
	s_or_b64 vcc, s[0:1], vcc
	v_addc_co_u32_e32 v6, vcc, 0, v11, vcc
	v_mul_f64 v[4:5], v[4:5], s[4:5]
	v_cmp_gt_i32_e32 vcc, 31, v10
	v_cndmask_b32_e32 v6, v0, v6, vcc
	v_cmp_ne_u32_e32 vcc, 0, v8
	v_cndmask_b32_e64 v8, 0, 1, vcc
	v_lshl_or_b32 v8, v8, 9, v0
	v_cmp_eq_u32_e32 vcc, s10, v10
	v_cndmask_b32_e32 v6, v6, v8, vcc
	v_and_or_b32 v4, v5, s6, v4
	v_lshrrev_b32_e32 v8, 16, v9
	v_cmp_ne_u32_e32 vcc, 0, v4
	v_and_or_b32 v6, v8, s11, v6
	v_cndmask_b32_e64 v4, 0, 1, vcc
	v_lshrrev_b32_e32 v8, 8, v5
	v_bfe_u32 v9, v5, 20, 11
	v_and_or_b32 v4, v8, s7, v4
	v_sub_u32_e32 v10, 0x3f1, v9
	v_or_b32_e32 v8, 0x1000, v4
	v_med3_i32 v10, v10, 0, 13
	v_lshrrev_b32_e32 v11, v10, v8
	v_lshlrev_b32_e32 v10, v10, v11
	v_cmp_ne_u32_e32 vcc, v10, v8
	v_cndmask_b32_e64 v8, 0, 1, vcc
	v_add_u32_e32 v10, 0xfffffc10, v9
	v_or_b32_e32 v8, v11, v8
	v_lshl_or_b32 v9, v10, 12, v4
	v_cmp_gt_i32_e32 vcc, 1, v10
	v_cndmask_b32_e32 v8, v9, v8, vcc
	v_and_b32_e32 v9, 7, v8
	v_cmp_lt_i32_e32 vcc, 5, v9
	v_cmp_eq_u32_e64 s[0:1], 3, v9
	v_lshrrev_b32_e32 v8, 2, v8
	s_or_b64 vcc, s[0:1], vcc
	v_addc_co_u32_e32 v8, vcc, 0, v8, vcc
	v_cmp_gt_i32_e32 vcc, 31, v10
	v_cndmask_b32_e32 v11, v0, v8, vcc
	ds_read2_b32 v[8:9], v41 offset0:104 offset1:117
	v_cmp_ne_u32_e32 vcc, 0, v4
	v_cndmask_b32_e64 v4, 0, 1, vcc
	v_lshl_or_b32 v4, v4, 9, v0
	v_cmp_eq_u32_e32 vcc, s10, v10
	s_waitcnt lgkmcnt(0)
	v_lshrrev_b32_e32 v10, 16, v8
	v_cndmask_b32_e32 v4, v11, v4, vcc
	v_mul_f16_sdwa v11, v46, v10 dst_sel:DWORD dst_unused:UNUSED_PAD src0_sel:WORD_1 src1_sel:DWORD
	v_fma_f16 v11, v46, v8, v11
	v_cvt_f32_f16_e32 v11, v11
	v_lshrrev_b32_e32 v5, 16, v5
	v_and_or_b32 v4, v5, s11, v4
	v_and_b32_e32 v5, 0xffff, v6
	v_lshl_or_b32 v6, v4, 16, v5
	v_cvt_f64_f32_e32 v[4:5], v11
	s_mul_i32 s0, s9, 0xd0
	s_mul_hi_u32 s2, s8, 0xd0
	s_add_i32 s2, s2, s0
	v_mul_f64 v[4:5], v[4:5], s[4:5]
	s_mul_i32 s3, s8, 0xd0
	v_mov_b32_e32 v11, s2
	v_add_co_u32_e32 v2, vcc, s3, v2
	v_addc_co_u32_e32 v3, vcc, v3, v11, vcc
	global_store_dword v[2:3], v6, off
	v_and_or_b32 v4, v5, s6, v4
	v_cmp_ne_u32_e32 vcc, 0, v4
	v_cndmask_b32_e64 v4, 0, 1, vcc
	v_lshrrev_b32_e32 v6, 8, v5
	v_bfe_u32 v11, v5, 20, 11
	v_and_or_b32 v4, v6, s7, v4
	v_sub_u32_e32 v12, 0x3f1, v11
	v_or_b32_e32 v6, 0x1000, v4
	v_med3_i32 v12, v12, 0, 13
	v_lshrrev_b32_e32 v13, v12, v6
	v_lshlrev_b32_e32 v12, v12, v13
	v_mul_f16_sdwa v8, v46, v8 dst_sel:DWORD dst_unused:UNUSED_PAD src0_sel:WORD_1 src1_sel:DWORD
	v_cmp_ne_u32_e32 vcc, v12, v6
	v_fma_f16 v8, v46, v10, -v8
	v_cndmask_b32_e64 v6, 0, 1, vcc
	v_add_u32_e32 v12, 0xfffffc10, v11
	v_cvt_f32_f16_e32 v8, v8
	v_or_b32_e32 v6, v13, v6
	v_lshl_or_b32 v11, v12, 12, v4
	v_cmp_gt_i32_e32 vcc, 1, v12
	v_cndmask_b32_e32 v6, v11, v6, vcc
	v_and_b32_e32 v11, 7, v6
	v_cmp_lt_i32_e32 vcc, 5, v11
	v_cmp_eq_u32_e64 s[0:1], 3, v11
	v_cvt_f64_f32_e32 v[10:11], v8
	v_lshrrev_b32_e32 v6, 2, v6
	s_or_b64 vcc, s[0:1], vcc
	v_addc_co_u32_e32 v6, vcc, 0, v6, vcc
	v_mul_f64 v[10:11], v[10:11], s[4:5]
	v_cmp_gt_i32_e32 vcc, 31, v12
	v_cndmask_b32_e32 v6, v0, v6, vcc
	v_cmp_ne_u32_e32 vcc, 0, v4
	v_cndmask_b32_e64 v4, 0, 1, vcc
	v_lshl_or_b32 v4, v4, 9, v0
	v_cmp_eq_u32_e32 vcc, s10, v12
	v_cndmask_b32_e32 v4, v6, v4, vcc
	v_lshrrev_b32_e32 v5, 16, v5
	v_and_or_b32 v6, v5, s11, v4
	v_and_or_b32 v4, v11, s6, v10
	v_cmp_ne_u32_e32 vcc, 0, v4
	v_cndmask_b32_e64 v4, 0, 1, vcc
	v_lshrrev_b32_e32 v5, 8, v11
	v_bfe_u32 v8, v11, 20, 11
	v_and_or_b32 v4, v5, s7, v4
	v_sub_u32_e32 v10, 0x3f1, v8
	v_or_b32_e32 v5, 0x1000, v4
	v_med3_i32 v10, v10, 0, 13
	v_lshrrev_b32_e32 v12, v10, v5
	v_lshlrev_b32_e32 v10, v10, v12
	v_cmp_ne_u32_e32 vcc, v10, v5
	v_cndmask_b32_e64 v5, 0, 1, vcc
	v_add_u32_e32 v8, 0xfffffc10, v8
	v_or_b32_e32 v5, v12, v5
	v_lshl_or_b32 v10, v8, 12, v4
	v_cmp_gt_i32_e32 vcc, 1, v8
	v_cndmask_b32_e32 v5, v10, v5, vcc
	v_and_b32_e32 v10, 7, v5
	v_cmp_lt_i32_e32 vcc, 5, v10
	v_cmp_eq_u32_e64 s[0:1], 3, v10
	v_lshrrev_b32_e32 v10, 16, v1
	v_lshrrev_b32_e32 v5, 2, v5
	s_or_b64 vcc, s[0:1], vcc
	v_mul_f16_sdwa v12, v45, v10 dst_sel:DWORD dst_unused:UNUSED_PAD src0_sel:WORD_1 src1_sel:DWORD
	v_addc_co_u32_e32 v5, vcc, 0, v5, vcc
	v_fma_f16 v12, v45, v1, v12
	v_cmp_gt_i32_e32 vcc, 31, v8
	v_cvt_f32_f16_e32 v12, v12
	v_cndmask_b32_e32 v5, v0, v5, vcc
	v_cmp_ne_u32_e32 vcc, 0, v4
	v_cndmask_b32_e64 v4, 0, 1, vcc
	v_lshl_or_b32 v4, v4, 9, v0
	v_cmp_eq_u32_e32 vcc, s10, v8
	v_cndmask_b32_e32 v8, v5, v4, vcc
	v_cvt_f64_f32_e32 v[4:5], v12
	v_lshrrev_b32_e32 v11, 16, v11
	v_and_or_b32 v8, v11, s11, v8
	v_and_b32_e32 v6, 0xffff, v6
	v_mul_f64 v[4:5], v[4:5], s[4:5]
	v_lshl_or_b32 v6, v8, 16, v6
	v_mov_b32_e32 v8, s2
	v_add_co_u32_e32 v2, vcc, s3, v2
	v_addc_co_u32_e32 v3, vcc, v3, v8, vcc
	global_store_dword v[2:3], v6, off
	v_and_or_b32 v4, v5, s6, v4
	v_cmp_ne_u32_e32 vcc, 0, v4
	v_cndmask_b32_e64 v4, 0, 1, vcc
	v_lshrrev_b32_e32 v6, 8, v5
	v_bfe_u32 v8, v5, 20, 11
	v_and_or_b32 v4, v6, s7, v4
	v_sub_u32_e32 v11, 0x3f1, v8
	v_or_b32_e32 v6, 0x1000, v4
	v_med3_i32 v11, v11, 0, 13
	v_lshrrev_b32_e32 v12, v11, v6
	v_lshlrev_b32_e32 v11, v11, v12
	v_mul_f16_sdwa v1, v45, v1 dst_sel:DWORD dst_unused:UNUSED_PAD src0_sel:WORD_1 src1_sel:DWORD
	v_cmp_ne_u32_e32 vcc, v11, v6
	v_fma_f16 v1, v45, v10, -v1
	v_cndmask_b32_e64 v6, 0, 1, vcc
	v_add_u32_e32 v8, 0xfffffc10, v8
	v_cvt_f32_f16_e32 v1, v1
	v_or_b32_e32 v6, v12, v6
	v_lshl_or_b32 v11, v8, 12, v4
	v_cmp_gt_i32_e32 vcc, 1, v8
	v_cndmask_b32_e32 v6, v11, v6, vcc
	v_and_b32_e32 v11, 7, v6
	v_cmp_lt_i32_e32 vcc, 5, v11
	v_cmp_eq_u32_e64 s[0:1], 3, v11
	v_cvt_f64_f32_e32 v[10:11], v1
	v_lshrrev_b32_e32 v6, 2, v6
	s_or_b64 vcc, s[0:1], vcc
	v_addc_co_u32_e32 v1, vcc, 0, v6, vcc
	v_mul_f64 v[10:11], v[10:11], s[4:5]
	v_cmp_gt_i32_e32 vcc, 31, v8
	v_cndmask_b32_e32 v1, v0, v1, vcc
	v_cmp_ne_u32_e32 vcc, 0, v4
	v_cndmask_b32_e64 v4, 0, 1, vcc
	v_lshl_or_b32 v4, v4, 9, v0
	v_cmp_eq_u32_e32 vcc, s10, v8
	v_cndmask_b32_e32 v1, v1, v4, vcc
	v_lshrrev_b32_e32 v4, 16, v5
	v_and_or_b32 v1, v4, s11, v1
	v_and_or_b32 v4, v11, s6, v10
	v_cmp_ne_u32_e32 vcc, 0, v4
	v_cndmask_b32_e64 v4, 0, 1, vcc
	v_lshrrev_b32_e32 v5, 8, v11
	v_bfe_u32 v6, v11, 20, 11
	v_and_or_b32 v4, v5, s7, v4
	v_sub_u32_e32 v8, 0x3f1, v6
	v_or_b32_e32 v5, 0x1000, v4
	v_med3_i32 v8, v8, 0, 13
	v_lshrrev_b32_e32 v10, v8, v5
	v_lshlrev_b32_e32 v8, v8, v10
	v_cmp_ne_u32_e32 vcc, v8, v5
	v_cndmask_b32_e64 v5, 0, 1, vcc
	v_add_u32_e32 v6, 0xfffffc10, v6
	v_or_b32_e32 v5, v10, v5
	v_lshl_or_b32 v8, v6, 12, v4
	v_cmp_gt_i32_e32 vcc, 1, v6
	v_cndmask_b32_e32 v5, v8, v5, vcc
	v_and_b32_e32 v8, 7, v5
	v_cmp_lt_i32_e32 vcc, 5, v8
	v_cmp_eq_u32_e64 s[0:1], 3, v8
	v_lshrrev_b32_e32 v5, 2, v5
	s_or_b64 vcc, s[0:1], vcc
	v_addc_co_u32_e32 v5, vcc, 0, v5, vcc
	v_cmp_gt_i32_e32 vcc, 31, v6
	v_cndmask_b32_e32 v5, v0, v5, vcc
	v_cmp_ne_u32_e32 vcc, 0, v4
	v_cndmask_b32_e64 v4, 0, 1, vcc
	v_lshl_or_b32 v4, v4, 9, v0
	v_cmp_eq_u32_e32 vcc, s10, v6
	v_cndmask_b32_e32 v4, v5, v4, vcc
	v_lshrrev_b32_e32 v5, 16, v11
	v_lshrrev_b32_e32 v6, 16, v7
	v_and_or_b32 v4, v5, s11, v4
	v_mul_f16_sdwa v5, v44, v6 dst_sel:DWORD dst_unused:UNUSED_PAD src0_sel:WORD_1 src1_sel:DWORD
	v_fma_f16 v5, v44, v7, v5
	v_cvt_f32_f16_e32 v5, v5
	v_and_b32_e32 v1, 0xffff, v1
	v_lshl_or_b32 v8, v4, 16, v1
	s_mul_hi_u32 s1, s8, 0xfffffe94
	v_cvt_f64_f32_e32 v[4:5], v5
	s_mul_i32 s0, s9, 0xfffffe94
	s_sub_i32 s9, s1, s8
	s_add_i32 s9, s9, s0
	v_mul_f64 v[4:5], v[4:5], s[4:5]
	s_mulk_i32 s8, 0xfe94
	v_mov_b32_e32 v10, s9
	v_add_co_u32_e32 v1, vcc, s8, v2
	v_addc_co_u32_e32 v2, vcc, v3, v10, vcc
	global_store_dword v[1:2], v8, off
	v_and_or_b32 v3, v5, s6, v4
	v_cmp_ne_u32_e32 vcc, 0, v3
	v_cndmask_b32_e64 v3, 0, 1, vcc
	v_lshrrev_b32_e32 v4, 8, v5
	v_and_or_b32 v8, v4, s7, v3
	v_bfe_u32 v4, v5, 20, 11
	v_sub_u32_e32 v10, 0x3f1, v4
	v_or_b32_e32 v3, 0x1000, v8
	v_med3_i32 v10, v10, 0, 13
	v_lshrrev_b32_e32 v11, v10, v3
	v_lshlrev_b32_e32 v10, v10, v11
	v_mul_f16_sdwa v7, v44, v7 dst_sel:DWORD dst_unused:UNUSED_PAD src0_sel:WORD_1 src1_sel:DWORD
	v_cmp_ne_u32_e32 vcc, v10, v3
	v_fma_f16 v6, v44, v6, -v7
	v_cndmask_b32_e64 v3, 0, 1, vcc
	v_add_u32_e32 v10, 0xfffffc10, v4
	v_cvt_f32_f16_e32 v6, v6
	v_or_b32_e32 v3, v11, v3
	v_lshl_or_b32 v4, v10, 12, v8
	v_cmp_gt_i32_e32 vcc, 1, v10
	v_cndmask_b32_e32 v3, v4, v3, vcc
	v_and_b32_e32 v4, 7, v3
	v_cmp_lt_i32_e32 vcc, 5, v4
	v_cmp_eq_u32_e64 s[0:1], 3, v4
	v_lshrrev_b32_e32 v7, 2, v3
	v_cvt_f64_f32_e32 v[3:4], v6
	s_or_b64 vcc, s[0:1], vcc
	v_addc_co_u32_e32 v6, vcc, 0, v7, vcc
	v_mul_f64 v[3:4], v[3:4], s[4:5]
	v_cmp_gt_i32_e32 vcc, 31, v10
	v_cndmask_b32_e32 v6, v0, v6, vcc
	v_cmp_ne_u32_e32 vcc, 0, v8
	v_cndmask_b32_e64 v7, 0, 1, vcc
	v_lshl_or_b32 v7, v7, 9, v0
	v_cmp_eq_u32_e32 vcc, s10, v10
	v_cndmask_b32_e32 v6, v6, v7, vcc
	v_and_or_b32 v3, v4, s6, v3
	v_lshrrev_b32_e32 v5, 16, v5
	v_cmp_ne_u32_e32 vcc, 0, v3
	v_and_or_b32 v7, v5, s11, v6
	v_cndmask_b32_e64 v3, 0, 1, vcc
	v_lshrrev_b32_e32 v5, 8, v4
	v_bfe_u32 v6, v4, 20, 11
	v_and_or_b32 v3, v5, s7, v3
	v_sub_u32_e32 v8, 0x3f1, v6
	v_or_b32_e32 v5, 0x1000, v3
	v_med3_i32 v8, v8, 0, 13
	v_lshrrev_b32_e32 v10, v8, v5
	v_lshlrev_b32_e32 v8, v8, v10
	v_cmp_ne_u32_e32 vcc, v8, v5
	v_cndmask_b32_e64 v5, 0, 1, vcc
	v_add_u32_e32 v6, 0xfffffc10, v6
	v_or_b32_e32 v5, v10, v5
	v_lshl_or_b32 v8, v6, 12, v3
	v_cmp_gt_i32_e32 vcc, 1, v6
	v_cndmask_b32_e32 v5, v8, v5, vcc
	v_and_b32_e32 v8, 7, v5
	v_cmp_lt_i32_e32 vcc, 5, v8
	v_cmp_eq_u32_e64 s[0:1], 3, v8
	v_lshrrev_b32_e32 v8, 16, v9
	v_lshrrev_b32_e32 v5, 2, v5
	s_or_b64 vcc, s[0:1], vcc
	v_mul_f16_sdwa v10, v43, v8 dst_sel:DWORD dst_unused:UNUSED_PAD src0_sel:WORD_1 src1_sel:DWORD
	v_addc_co_u32_e32 v5, vcc, 0, v5, vcc
	v_fma_f16 v10, v43, v9, v10
	v_cmp_gt_i32_e32 vcc, 31, v6
	v_cvt_f32_f16_e32 v10, v10
	v_cndmask_b32_e32 v5, v0, v5, vcc
	v_cmp_ne_u32_e32 vcc, 0, v3
	v_cndmask_b32_e64 v3, 0, 1, vcc
	v_lshl_or_b32 v3, v3, 9, v0
	v_cmp_eq_u32_e32 vcc, s10, v6
	v_cndmask_b32_e32 v3, v5, v3, vcc
	v_cvt_f64_f32_e32 v[5:6], v10
	v_lshrrev_b32_e32 v4, 16, v4
	v_and_or_b32 v10, v4, s11, v3
	v_add_co_u32_e32 v1, vcc, s3, v1
	v_mul_f64 v[3:4], v[5:6], s[4:5]
	v_mov_b32_e32 v6, s2
	v_and_b32_e32 v7, 0xffff, v7
	v_addc_co_u32_e32 v2, vcc, v2, v6, vcc
	v_lshl_or_b32 v5, v10, 16, v7
	global_store_dword v[1:2], v5, off
	v_mul_f16_sdwa v9, v43, v9 dst_sel:DWORD dst_unused:UNUSED_PAD src0_sel:WORD_1 src1_sel:DWORD
	v_and_or_b32 v3, v4, s6, v3
	v_cmp_ne_u32_e32 vcc, 0, v3
	v_cndmask_b32_e64 v3, 0, 1, vcc
	v_lshrrev_b32_e32 v5, 8, v4
	v_bfe_u32 v6, v4, 20, 11
	v_and_or_b32 v3, v5, s7, v3
	v_sub_u32_e32 v7, 0x3f1, v6
	v_or_b32_e32 v5, 0x1000, v3
	v_med3_i32 v7, v7, 0, 13
	v_lshrrev_b32_e32 v10, v7, v5
	v_lshlrev_b32_e32 v7, v7, v10
	v_cmp_ne_u32_e32 vcc, v7, v5
	v_fma_f16 v8, v43, v8, -v9
	v_cndmask_b32_e64 v5, 0, 1, vcc
	v_add_u32_e32 v7, 0xfffffc10, v6
	v_cvt_f32_f16_e32 v8, v8
	v_or_b32_e32 v5, v10, v5
	v_lshl_or_b32 v6, v7, 12, v3
	v_cmp_gt_i32_e32 vcc, 1, v7
	v_cndmask_b32_e32 v5, v6, v5, vcc
	v_and_b32_e32 v6, 7, v5
	v_cmp_lt_i32_e32 vcc, 5, v6
	v_cmp_eq_u32_e64 s[0:1], 3, v6
	v_lshrrev_b32_e32 v9, 2, v5
	v_cvt_f64_f32_e32 v[5:6], v8
	s_or_b64 vcc, s[0:1], vcc
	v_addc_co_u32_e32 v8, vcc, 0, v9, vcc
	v_mul_f64 v[5:6], v[5:6], s[4:5]
	v_cmp_gt_i32_e32 vcc, 31, v7
	v_cndmask_b32_e32 v8, v0, v8, vcc
	v_cmp_ne_u32_e32 vcc, 0, v3
	v_cndmask_b32_e64 v3, 0, 1, vcc
	v_lshl_or_b32 v3, v3, 9, v0
	v_cmp_eq_u32_e32 vcc, s10, v7
	v_cndmask_b32_e32 v3, v8, v3, vcc
	v_lshrrev_b32_e32 v4, 16, v4
	v_and_or_b32 v9, v4, s11, v3
	v_and_or_b32 v3, v6, s6, v5
	v_cmp_ne_u32_e32 vcc, 0, v3
	v_cndmask_b32_e64 v3, 0, 1, vcc
	v_lshrrev_b32_e32 v4, 8, v6
	v_and_or_b32 v5, v4, s7, v3
	v_bfe_u32 v4, v6, 20, 11
	v_sub_u32_e32 v7, 0x3f1, v4
	v_or_b32_e32 v3, 0x1000, v5
	v_med3_i32 v7, v7, 0, 13
	v_lshrrev_b32_e32 v8, v7, v3
	v_lshlrev_b32_e32 v7, v7, v8
	v_cmp_ne_u32_e32 vcc, v7, v3
	v_cndmask_b32_e64 v3, 0, 1, vcc
	v_add_u32_e32 v7, 0xfffffc10, v4
	v_or_b32_e32 v3, v8, v3
	v_lshl_or_b32 v4, v7, 12, v5
	v_cmp_gt_i32_e32 vcc, 1, v7
	v_cndmask_b32_e32 v3, v4, v3, vcc
	v_and_b32_e32 v4, 7, v3
	v_cmp_lt_i32_e32 vcc, 5, v4
	v_cmp_eq_u32_e64 s[0:1], 3, v4
	v_lshrrev_b32_e32 v3, 2, v3
	s_or_b64 vcc, s[0:1], vcc
	v_addc_co_u32_e32 v8, vcc, 0, v3, vcc
	ds_read2_b32 v[3:4], v41 offset0:26 offset1:39
	v_cmp_gt_i32_e32 vcc, 31, v7
	v_cndmask_b32_e32 v8, v0, v8, vcc
	v_cmp_ne_u32_e32 vcc, 0, v5
	v_cndmask_b32_e64 v5, 0, 1, vcc
	s_waitcnt lgkmcnt(0)
	v_lshrrev_b32_e32 v10, 16, v3
	v_mul_f16_sdwa v11, v42, v10 dst_sel:DWORD dst_unused:UNUSED_PAD src0_sel:WORD_1 src1_sel:DWORD
	v_fma_f16 v11, v42, v3, v11
	v_cvt_f32_f16_e32 v11, v11
	v_lshl_or_b32 v5, v5, 9, v0
	v_cmp_eq_u32_e32 vcc, s10, v7
	v_cndmask_b32_e32 v5, v8, v5, vcc
	v_cvt_f64_f32_e32 v[7:8], v11
	v_lshrrev_b32_e32 v6, 16, v6
	v_and_or_b32 v11, v6, s11, v5
	v_add_co_u32_e32 v1, vcc, s3, v1
	v_mul_f64 v[5:6], v[7:8], s[4:5]
	v_mov_b32_e32 v8, s2
	v_and_b32_e32 v9, 0xffff, v9
	v_addc_co_u32_e32 v2, vcc, v2, v8, vcc
	v_lshl_or_b32 v7, v11, 16, v9
	global_store_dword v[1:2], v7, off
	v_mul_f16_sdwa v3, v42, v3 dst_sel:DWORD dst_unused:UNUSED_PAD src0_sel:WORD_1 src1_sel:DWORD
	v_and_or_b32 v5, v6, s6, v5
	v_cmp_ne_u32_e32 vcc, 0, v5
	v_cndmask_b32_e64 v5, 0, 1, vcc
	v_lshrrev_b32_e32 v7, 8, v6
	v_bfe_u32 v8, v6, 20, 11
	v_and_or_b32 v5, v7, s7, v5
	v_sub_u32_e32 v9, 0x3f1, v8
	v_or_b32_e32 v7, 0x1000, v5
	v_med3_i32 v9, v9, 0, 13
	v_lshrrev_b32_e32 v11, v9, v7
	v_lshlrev_b32_e32 v9, v9, v11
	v_cmp_ne_u32_e32 vcc, v9, v7
	v_fma_f16 v3, v42, v10, -v3
	v_cndmask_b32_e64 v7, 0, 1, vcc
	v_add_u32_e32 v9, 0xfffffc10, v8
	v_cvt_f32_f16_e32 v3, v3
	v_or_b32_e32 v7, v11, v7
	v_lshl_or_b32 v8, v9, 12, v5
	v_cmp_gt_i32_e32 vcc, 1, v9
	v_cndmask_b32_e32 v7, v8, v7, vcc
	v_and_b32_e32 v8, 7, v7
	v_cmp_lt_i32_e32 vcc, 5, v8
	v_cmp_eq_u32_e64 s[0:1], 3, v8
	v_lshrrev_b32_e32 v10, 2, v7
	v_cvt_f64_f32_e32 v[7:8], v3
	s_or_b64 vcc, s[0:1], vcc
	v_addc_co_u32_e32 v3, vcc, 0, v10, vcc
	v_mul_f64 v[7:8], v[7:8], s[4:5]
	v_cmp_gt_i32_e32 vcc, 31, v9
	v_cndmask_b32_e32 v3, v0, v3, vcc
	v_cmp_ne_u32_e32 vcc, 0, v5
	v_cndmask_b32_e64 v5, 0, 1, vcc
	v_lshl_or_b32 v5, v5, 9, v0
	v_cmp_eq_u32_e32 vcc, s10, v9
	v_cndmask_b32_e32 v3, v3, v5, vcc
	v_lshrrev_b32_e32 v5, 16, v6
	v_and_or_b32 v3, v5, s11, v3
	v_and_or_b32 v5, v8, s6, v7
	v_cmp_ne_u32_e32 vcc, 0, v5
	v_cndmask_b32_e64 v5, 0, 1, vcc
	v_lshrrev_b32_e32 v6, 8, v8
	v_and_or_b32 v7, v6, s7, v5
	v_bfe_u32 v6, v8, 20, 11
	v_sub_u32_e32 v9, 0x3f1, v6
	v_or_b32_e32 v5, 0x1000, v7
	v_med3_i32 v9, v9, 0, 13
	v_lshrrev_b32_e32 v10, v9, v5
	v_lshlrev_b32_e32 v9, v9, v10
	v_cmp_ne_u32_e32 vcc, v9, v5
	v_cndmask_b32_e64 v5, 0, 1, vcc
	v_add_u32_e32 v9, 0xfffffc10, v6
	v_or_b32_e32 v5, v10, v5
	v_lshl_or_b32 v6, v9, 12, v7
	v_cmp_gt_i32_e32 vcc, 1, v9
	v_cndmask_b32_e32 v5, v6, v5, vcc
	v_and_b32_e32 v6, 7, v5
	v_cmp_lt_i32_e32 vcc, 5, v6
	v_cmp_eq_u32_e64 s[0:1], 3, v6
	v_lshrrev_b32_e32 v5, 2, v5
	s_or_b64 vcc, s[0:1], vcc
	v_addc_co_u32_e32 v10, vcc, 0, v5, vcc
	ds_read2_b32 v[5:6], v41 offset0:78 offset1:91
	v_cmp_gt_i32_e32 vcc, 31, v9
	v_cndmask_b32_e32 v10, v0, v10, vcc
	v_cmp_ne_u32_e32 vcc, 0, v7
	v_cndmask_b32_e64 v7, 0, 1, vcc
	s_waitcnt lgkmcnt(0)
	v_lshrrev_b32_e32 v11, 16, v5
	v_mul_f16_sdwa v12, v40, v11 dst_sel:DWORD dst_unused:UNUSED_PAD src0_sel:WORD_1 src1_sel:DWORD
	v_fma_f16 v12, v40, v5, v12
	v_cvt_f32_f16_e32 v12, v12
	v_lshl_or_b32 v7, v7, 9, v0
	v_cmp_eq_u32_e32 vcc, s10, v9
	v_cndmask_b32_e32 v7, v10, v7, vcc
	v_cvt_f64_f32_e32 v[9:10], v12
	v_lshrrev_b32_e32 v8, 16, v8
	v_and_or_b32 v12, v8, s11, v7
	v_and_b32_e32 v3, 0xffff, v3
	v_mul_f64 v[7:8], v[9:10], s[4:5]
	v_mov_b32_e32 v9, s9
	v_add_co_u32_e32 v1, vcc, s8, v1
	v_lshl_or_b32 v3, v12, 16, v3
	v_addc_co_u32_e32 v2, vcc, v2, v9, vcc
	global_store_dword v[1:2], v3, off
	v_and_or_b32 v3, v8, s6, v7
	v_cmp_ne_u32_e32 vcc, 0, v3
	v_cndmask_b32_e64 v3, 0, 1, vcc
	v_lshrrev_b32_e32 v7, 8, v8
	v_bfe_u32 v9, v8, 20, 11
	v_and_or_b32 v3, v7, s7, v3
	v_sub_u32_e32 v10, 0x3f1, v9
	v_or_b32_e32 v7, 0x1000, v3
	v_med3_i32 v10, v10, 0, 13
	v_lshrrev_b32_e32 v12, v10, v7
	v_lshlrev_b32_e32 v10, v10, v12
	v_cmp_ne_u32_e32 vcc, v10, v7
	v_mul_f16_sdwa v5, v40, v5 dst_sel:DWORD dst_unused:UNUSED_PAD src0_sel:WORD_1 src1_sel:DWORD
	v_cndmask_b32_e64 v7, 0, 1, vcc
	v_fma_f16 v5, v40, v11, -v5
	v_or_b32_e32 v7, v12, v7
	v_add_u32_e32 v12, 0xfffffc10, v9
	v_cvt_f32_f16_e32 v5, v5
	v_lshl_or_b32 v9, v12, 12, v3
	v_cmp_gt_i32_e32 vcc, 1, v12
	v_cndmask_b32_e32 v7, v9, v7, vcc
	v_and_b32_e32 v9, 7, v7
	v_cmp_lt_i32_e32 vcc, 5, v9
	v_cmp_eq_u32_e64 s[0:1], 3, v9
	v_cvt_f64_f32_e32 v[9:10], v5
	v_lshrrev_b32_e32 v7, 2, v7
	s_or_b64 vcc, s[0:1], vcc
	v_addc_co_u32_e32 v5, vcc, 0, v7, vcc
	v_mul_f64 v[9:10], v[9:10], s[4:5]
	v_cmp_gt_i32_e32 vcc, 31, v12
	v_cndmask_b32_e32 v5, v0, v5, vcc
	v_cmp_ne_u32_e32 vcc, 0, v3
	v_cndmask_b32_e64 v3, 0, 1, vcc
	v_lshl_or_b32 v3, v3, 9, v0
	v_cmp_eq_u32_e32 vcc, s10, v12
	v_cndmask_b32_e32 v3, v5, v3, vcc
	v_lshrrev_b32_e32 v5, 16, v8
	v_and_or_b32 v3, v5, s11, v3
	v_and_or_b32 v5, v10, s6, v9
	v_cmp_ne_u32_e32 vcc, 0, v5
	v_cndmask_b32_e64 v5, 0, 1, vcc
	v_lshrrev_b32_e32 v7, 8, v10
	v_bfe_u32 v8, v10, 20, 11
	v_and_or_b32 v5, v7, s7, v5
	v_sub_u32_e32 v9, 0x3f1, v8
	v_or_b32_e32 v7, 0x1000, v5
	v_med3_i32 v9, v9, 0, 13
	v_lshrrev_b32_e32 v11, v9, v7
	v_lshlrev_b32_e32 v9, v9, v11
	v_cmp_ne_u32_e32 vcc, v9, v7
	v_cndmask_b32_e64 v7, 0, 1, vcc
	v_add_u32_e32 v9, 0xfffffc10, v8
	v_or_b32_e32 v7, v11, v7
	v_lshl_or_b32 v8, v9, 12, v5
	v_cmp_gt_i32_e32 vcc, 1, v9
	v_cndmask_b32_e32 v7, v8, v7, vcc
	v_and_b32_e32 v8, 7, v7
	v_cmp_lt_i32_e32 vcc, 5, v8
	v_cmp_eq_u32_e64 s[0:1], 3, v8
	v_lshrrev_b32_e32 v7, 2, v7
	s_or_b64 vcc, s[0:1], vcc
	v_addc_co_u32_e32 v11, vcc, 0, v7, vcc
	ds_read2_b32 v[7:8], v41 offset0:130 offset1:143
	v_cmp_gt_i32_e32 vcc, 31, v9
	v_cndmask_b32_e32 v11, v0, v11, vcc
	v_cmp_ne_u32_e32 vcc, 0, v5
	v_cndmask_b32_e64 v5, 0, 1, vcc
	s_waitcnt lgkmcnt(0)
	v_lshrrev_b32_e32 v13, 16, v7
	v_mul_f16_sdwa v12, v39, v13 dst_sel:DWORD dst_unused:UNUSED_PAD src0_sel:WORD_1 src1_sel:DWORD
	v_fma_f16 v12, v39, v7, v12
	v_cvt_f32_f16_e32 v12, v12
	v_lshl_or_b32 v5, v5, 9, v0
	v_cmp_eq_u32_e32 vcc, s10, v9
	v_cndmask_b32_e32 v5, v11, v5, vcc
	v_cvt_f64_f32_e32 v[11:12], v12
	v_lshrrev_b32_e32 v9, 16, v10
	v_and_or_b32 v5, v9, s11, v5
	v_and_b32_e32 v3, 0xffff, v3
	v_mul_f64 v[9:10], v[11:12], s[4:5]
	v_lshl_or_b32 v3, v5, 16, v3
	v_mov_b32_e32 v5, s2
	v_add_co_u32_e32 v1, vcc, s3, v1
	v_addc_co_u32_e32 v2, vcc, v2, v5, vcc
	global_store_dword v[1:2], v3, off
	v_and_or_b32 v3, v10, s6, v9
	v_cmp_ne_u32_e32 vcc, 0, v3
	v_cndmask_b32_e64 v3, 0, 1, vcc
	v_lshrrev_b32_e32 v5, 8, v10
	v_bfe_u32 v9, v10, 20, 11
	v_and_or_b32 v3, v5, s7, v3
	v_sub_u32_e32 v11, 0x3f1, v9
	v_or_b32_e32 v5, 0x1000, v3
	v_med3_i32 v11, v11, 0, 13
	v_lshrrev_b32_e32 v12, v11, v5
	v_lshlrev_b32_e32 v11, v11, v12
	v_mul_f16_sdwa v7, v39, v7 dst_sel:DWORD dst_unused:UNUSED_PAD src0_sel:WORD_1 src1_sel:DWORD
	v_cmp_ne_u32_e32 vcc, v11, v5
	v_fma_f16 v7, v39, v13, -v7
	v_cndmask_b32_e64 v5, 0, 1, vcc
	v_add_u32_e32 v9, 0xfffffc10, v9
	v_cvt_f32_f16_e32 v7, v7
	v_or_b32_e32 v5, v12, v5
	v_lshl_or_b32 v11, v9, 12, v3
	v_cmp_gt_i32_e32 vcc, 1, v9
	v_cndmask_b32_e32 v5, v11, v5, vcc
	v_and_b32_e32 v11, 7, v5
	v_cmp_lt_i32_e32 vcc, 5, v11
	v_cmp_eq_u32_e64 s[0:1], 3, v11
	v_cvt_f64_f32_e32 v[11:12], v7
	v_lshrrev_b32_e32 v5, 2, v5
	s_or_b64 vcc, s[0:1], vcc
	v_addc_co_u32_e32 v5, vcc, 0, v5, vcc
	v_mul_f64 v[11:12], v[11:12], s[4:5]
	v_cmp_gt_i32_e32 vcc, 31, v9
	v_cndmask_b32_e32 v5, v0, v5, vcc
	v_cmp_ne_u32_e32 vcc, 0, v3
	v_cndmask_b32_e64 v3, 0, 1, vcc
	v_lshl_or_b32 v3, v3, 9, v0
	v_cmp_eq_u32_e32 vcc, s10, v9
	v_cndmask_b32_e32 v3, v5, v3, vcc
	v_lshrrev_b32_e32 v5, 16, v10
	v_and_or_b32 v3, v5, s11, v3
	v_and_or_b32 v5, v12, s6, v11
	v_cmp_ne_u32_e32 vcc, 0, v5
	v_cndmask_b32_e64 v5, 0, 1, vcc
	v_lshrrev_b32_e32 v7, 8, v12
	v_bfe_u32 v9, v12, 20, 11
	v_and_or_b32 v5, v7, s7, v5
	v_sub_u32_e32 v10, 0x3f1, v9
	v_or_b32_e32 v7, 0x1000, v5
	v_med3_i32 v10, v10, 0, 13
	v_lshrrev_b32_e32 v11, v10, v7
	v_lshlrev_b32_e32 v10, v10, v11
	v_cmp_ne_u32_e32 vcc, v10, v7
	v_cndmask_b32_e64 v7, 0, 1, vcc
	v_add_u32_e32 v9, 0xfffffc10, v9
	v_or_b32_e32 v7, v11, v7
	v_lshl_or_b32 v10, v9, 12, v5
	v_cmp_gt_i32_e32 vcc, 1, v9
	v_cndmask_b32_e32 v7, v10, v7, vcc
	v_and_b32_e32 v10, 7, v7
	v_lshrrev_b32_e32 v11, 16, v4
	v_cmp_lt_i32_e32 vcc, 5, v10
	v_cmp_eq_u32_e64 s[0:1], 3, v10
	v_mul_f16_sdwa v10, v38, v11 dst_sel:DWORD dst_unused:UNUSED_PAD src0_sel:WORD_1 src1_sel:DWORD
	v_fma_f16 v10, v38, v4, v10
	v_lshrrev_b32_e32 v7, 2, v7
	s_or_b64 vcc, s[0:1], vcc
	v_cvt_f32_f16_e32 v10, v10
	v_addc_co_u32_e32 v7, vcc, 0, v7, vcc
	v_cmp_gt_i32_e32 vcc, 31, v9
	v_cndmask_b32_e32 v7, v0, v7, vcc
	v_cmp_ne_u32_e32 vcc, 0, v5
	v_cndmask_b32_e64 v5, 0, 1, vcc
	v_cmp_eq_u32_e32 vcc, s10, v9
	v_cvt_f64_f32_e32 v[9:10], v10
	v_lshl_or_b32 v5, v5, 9, v0
	v_cndmask_b32_e32 v5, v7, v5, vcc
	v_lshrrev_b32_e32 v7, 16, v12
	v_mul_f64 v[9:10], v[9:10], s[4:5]
	v_and_or_b32 v5, v7, s11, v5
	v_and_b32_e32 v3, 0xffff, v3
	v_lshl_or_b32 v3, v5, 16, v3
	v_mov_b32_e32 v5, s2
	v_add_co_u32_e32 v1, vcc, s3, v1
	v_addc_co_u32_e32 v2, vcc, v2, v5, vcc
	global_store_dword v[1:2], v3, off
	v_and_or_b32 v3, v10, s6, v9
	v_cmp_ne_u32_e32 vcc, 0, v3
	v_cndmask_b32_e64 v3, 0, 1, vcc
	v_lshrrev_b32_e32 v5, 8, v10
	v_bfe_u32 v7, v10, 20, 11
	v_and_or_b32 v5, v5, s7, v3
	v_sub_u32_e32 v9, 0x3f1, v7
	v_or_b32_e32 v3, 0x1000, v5
	v_med3_i32 v9, v9, 0, 13
	v_lshrrev_b32_e32 v12, v9, v3
	v_lshlrev_b32_e32 v9, v9, v12
	v_mul_f16_sdwa v4, v38, v4 dst_sel:DWORD dst_unused:UNUSED_PAD src0_sel:WORD_1 src1_sel:DWORD
	v_cmp_ne_u32_e32 vcc, v9, v3
	v_fma_f16 v4, v38, v11, -v4
	v_cndmask_b32_e64 v3, 0, 1, vcc
	v_add_u32_e32 v7, 0xfffffc10, v7
	v_cvt_f32_f16_e32 v4, v4
	v_or_b32_e32 v3, v12, v3
	v_lshl_or_b32 v9, v7, 12, v5
	v_cmp_gt_i32_e32 vcc, 1, v7
	v_cndmask_b32_e32 v3, v9, v3, vcc
	v_and_b32_e32 v9, 7, v3
	v_cmp_lt_i32_e32 vcc, 5, v9
	v_cmp_eq_u32_e64 s[0:1], 3, v9
	v_lshrrev_b32_e32 v9, 2, v3
	v_cvt_f64_f32_e32 v[3:4], v4
	s_or_b64 vcc, s[0:1], vcc
	v_addc_co_u32_e32 v9, vcc, 0, v9, vcc
	v_mul_f64 v[3:4], v[3:4], s[4:5]
	v_cmp_gt_i32_e32 vcc, 31, v7
	v_cndmask_b32_e32 v9, v0, v9, vcc
	v_cmp_ne_u32_e32 vcc, 0, v5
	v_cndmask_b32_e64 v5, 0, 1, vcc
	v_lshl_or_b32 v5, v5, 9, v0
	v_cmp_eq_u32_e32 vcc, s10, v7
	v_cndmask_b32_e32 v5, v9, v5, vcc
	v_and_or_b32 v3, v4, s6, v3
	v_lshrrev_b32_e32 v7, 16, v10
	v_cmp_ne_u32_e32 vcc, 0, v3
	v_and_or_b32 v5, v7, s11, v5
	v_cndmask_b32_e64 v3, 0, 1, vcc
	v_lshrrev_b32_e32 v7, 8, v4
	v_bfe_u32 v9, v4, 20, 11
	v_and_or_b32 v3, v7, s7, v3
	v_sub_u32_e32 v10, 0x3f1, v9
	v_or_b32_e32 v7, 0x1000, v3
	v_med3_i32 v10, v10, 0, 13
	v_lshrrev_b32_e32 v11, v10, v7
	v_lshlrev_b32_e32 v10, v10, v11
	v_cmp_ne_u32_e32 vcc, v10, v7
	v_cndmask_b32_e64 v7, 0, 1, vcc
	v_add_u32_e32 v9, 0xfffffc10, v9
	v_or_b32_e32 v7, v11, v7
	v_lshl_or_b32 v10, v9, 12, v3
	v_cmp_gt_i32_e32 vcc, 1, v9
	v_cndmask_b32_e32 v7, v10, v7, vcc
	v_and_b32_e32 v10, 7, v7
	v_lshrrev_b32_e32 v11, 16, v6
	v_cmp_lt_i32_e32 vcc, 5, v10
	v_cmp_eq_u32_e64 s[0:1], 3, v10
	v_mul_f16_sdwa v10, v37, v11 dst_sel:DWORD dst_unused:UNUSED_PAD src0_sel:WORD_1 src1_sel:DWORD
	v_fma_f16 v10, v37, v6, v10
	v_lshrrev_b32_e32 v7, 2, v7
	s_or_b64 vcc, s[0:1], vcc
	v_cvt_f32_f16_e32 v10, v10
	v_addc_co_u32_e32 v7, vcc, 0, v7, vcc
	v_cmp_gt_i32_e32 vcc, 31, v9
	v_cndmask_b32_e32 v7, v0, v7, vcc
	v_cmp_ne_u32_e32 vcc, 0, v3
	v_cndmask_b32_e64 v3, 0, 1, vcc
	v_cmp_eq_u32_e32 vcc, s10, v9
	v_cvt_f64_f32_e32 v[9:10], v10
	v_lshl_or_b32 v3, v3, 9, v0
	v_cndmask_b32_e32 v3, v7, v3, vcc
	v_lshrrev_b32_e32 v4, 16, v4
	v_and_or_b32 v7, v4, s11, v3
	v_mul_f64 v[3:4], v[9:10], s[4:5]
	v_and_b32_e32 v5, 0xffff, v5
	v_lshl_or_b32 v5, v7, 16, v5
	v_mov_b32_e32 v7, s9
	v_add_co_u32_e32 v1, vcc, s8, v1
	v_addc_co_u32_e32 v2, vcc, v2, v7, vcc
	v_and_or_b32 v3, v4, s6, v3
	v_cmp_ne_u32_e32 vcc, 0, v3
	global_store_dword v[1:2], v5, off
	v_cndmask_b32_e64 v3, 0, 1, vcc
	v_lshrrev_b32_e32 v5, 8, v4
	v_bfe_u32 v7, v4, 20, 11
	v_and_or_b32 v3, v5, s7, v3
	v_sub_u32_e32 v9, 0x3f1, v7
	v_or_b32_e32 v5, 0x1000, v3
	v_med3_i32 v9, v9, 0, 13
	v_lshrrev_b32_e32 v10, v9, v5
	v_lshlrev_b32_e32 v9, v9, v10
	v_mul_f16_sdwa v6, v37, v6 dst_sel:DWORD dst_unused:UNUSED_PAD src0_sel:WORD_1 src1_sel:DWORD
	v_cmp_ne_u32_e32 vcc, v9, v5
	v_fma_f16 v6, v37, v11, -v6
	v_cndmask_b32_e64 v5, 0, 1, vcc
	v_add_u32_e32 v7, 0xfffffc10, v7
	v_cvt_f32_f16_e32 v6, v6
	v_or_b32_e32 v5, v10, v5
	v_lshl_or_b32 v9, v7, 12, v3
	v_cmp_gt_i32_e32 vcc, 1, v7
	v_cndmask_b32_e32 v5, v9, v5, vcc
	v_and_b32_e32 v9, 7, v5
	v_cmp_lt_i32_e32 vcc, 5, v9
	v_cmp_eq_u32_e64 s[0:1], 3, v9
	v_lshrrev_b32_e32 v9, 2, v5
	v_cvt_f64_f32_e32 v[5:6], v6
	s_or_b64 vcc, s[0:1], vcc
	v_addc_co_u32_e32 v9, vcc, 0, v9, vcc
	v_mul_f64 v[5:6], v[5:6], s[4:5]
	v_cmp_gt_i32_e32 vcc, 31, v7
	v_cndmask_b32_e32 v9, v0, v9, vcc
	v_cmp_ne_u32_e32 vcc, 0, v3
	v_cndmask_b32_e64 v3, 0, 1, vcc
	v_lshl_or_b32 v3, v3, 9, v0
	v_cmp_eq_u32_e32 vcc, s10, v7
	v_cndmask_b32_e32 v3, v9, v3, vcc
	v_lshrrev_b32_e32 v4, 16, v4
	v_and_or_b32 v7, v4, s11, v3
	v_and_or_b32 v3, v6, s6, v5
	v_cmp_ne_u32_e32 vcc, 0, v3
	v_cndmask_b32_e64 v3, 0, 1, vcc
	v_lshrrev_b32_e32 v4, 8, v6
	v_bfe_u32 v5, v6, 20, 11
	v_and_or_b32 v3, v4, s7, v3
	v_sub_u32_e32 v9, 0x3f1, v5
	v_or_b32_e32 v4, 0x1000, v3
	v_med3_i32 v9, v9, 0, 13
	v_lshrrev_b32_e32 v10, v9, v4
	v_lshlrev_b32_e32 v9, v9, v10
	v_cmp_ne_u32_e32 vcc, v9, v4
	v_cndmask_b32_e64 v4, 0, 1, vcc
	v_add_u32_e32 v5, 0xfffffc10, v5
	v_or_b32_e32 v4, v10, v4
	v_lshl_or_b32 v9, v5, 12, v3
	v_cmp_gt_i32_e32 vcc, 1, v5
	v_cndmask_b32_e32 v4, v9, v4, vcc
	v_and_b32_e32 v9, 7, v4
	v_cmp_lt_i32_e32 vcc, 5, v9
	v_cmp_eq_u32_e64 s[0:1], 3, v9
	v_lshrrev_b32_e32 v9, 16, v8
	v_lshrrev_b32_e32 v4, 2, v4
	s_or_b64 vcc, s[0:1], vcc
	v_mul_f16_sdwa v10, v36, v9 dst_sel:DWORD dst_unused:UNUSED_PAD src0_sel:WORD_1 src1_sel:DWORD
	v_addc_co_u32_e32 v4, vcc, 0, v4, vcc
	v_fma_f16 v10, v36, v8, v10
	v_cmp_gt_i32_e32 vcc, 31, v5
	v_cvt_f32_f16_e32 v10, v10
	v_cndmask_b32_e32 v4, v0, v4, vcc
	v_cmp_ne_u32_e32 vcc, 0, v3
	v_cndmask_b32_e64 v3, 0, 1, vcc
	v_lshl_or_b32 v3, v3, 9, v0
	v_cmp_eq_u32_e32 vcc, s10, v5
	v_cndmask_b32_e32 v5, v4, v3, vcc
	v_cvt_f64_f32_e32 v[3:4], v10
	v_lshrrev_b32_e32 v6, 16, v6
	v_and_or_b32 v5, v6, s11, v5
	v_and_b32_e32 v6, 0xffff, v7
	v_mul_f64 v[3:4], v[3:4], s[4:5]
	v_lshl_or_b32 v5, v5, 16, v6
	v_mov_b32_e32 v6, s2
	v_add_co_u32_e32 v1, vcc, s3, v1
	v_addc_co_u32_e32 v2, vcc, v2, v6, vcc
	global_store_dword v[1:2], v5, off
	v_and_or_b32 v3, v4, s6, v3
	v_cmp_ne_u32_e32 vcc, 0, v3
	v_cndmask_b32_e64 v3, 0, 1, vcc
	v_lshrrev_b32_e32 v5, 8, v4
	v_bfe_u32 v6, v4, 20, 11
	v_and_or_b32 v3, v5, s7, v3
	v_sub_u32_e32 v7, 0x3f1, v6
	v_or_b32_e32 v5, 0x1000, v3
	v_med3_i32 v7, v7, 0, 13
	v_lshrrev_b32_e32 v10, v7, v5
	v_lshlrev_b32_e32 v7, v7, v10
	v_mul_f16_sdwa v8, v36, v8 dst_sel:DWORD dst_unused:UNUSED_PAD src0_sel:WORD_1 src1_sel:DWORD
	v_cmp_ne_u32_e32 vcc, v7, v5
	v_fma_f16 v8, v36, v9, -v8
	v_cndmask_b32_e64 v5, 0, 1, vcc
	v_add_u32_e32 v7, 0xfffffc10, v6
	v_cvt_f32_f16_e32 v8, v8
	v_or_b32_e32 v5, v10, v5
	v_lshl_or_b32 v6, v7, 12, v3
	v_cmp_gt_i32_e32 vcc, 1, v7
	v_cndmask_b32_e32 v5, v6, v5, vcc
	v_and_b32_e32 v6, 7, v5
	v_cmp_lt_i32_e32 vcc, 5, v6
	v_cmp_eq_u32_e64 s[0:1], 3, v6
	v_lshrrev_b32_e32 v9, 2, v5
	v_cvt_f64_f32_e32 v[5:6], v8
	s_or_b64 vcc, s[0:1], vcc
	v_addc_co_u32_e32 v8, vcc, 0, v9, vcc
	v_mul_f64 v[5:6], v[5:6], s[4:5]
	v_cmp_gt_i32_e32 vcc, 31, v7
	v_cndmask_b32_e32 v8, v0, v8, vcc
	v_cmp_ne_u32_e32 vcc, 0, v3
	v_cndmask_b32_e64 v3, 0, 1, vcc
	v_lshl_or_b32 v3, v3, 9, v0
	v_cmp_eq_u32_e32 vcc, s10, v7
	v_cndmask_b32_e32 v3, v8, v3, vcc
	v_lshrrev_b32_e32 v4, 16, v4
	v_and_or_b32 v3, v4, s11, v3
	v_and_or_b32 v4, v6, s6, v5
	v_cmp_ne_u32_e32 vcc, 0, v4
	v_cndmask_b32_e64 v4, 0, 1, vcc
	v_lshrrev_b32_e32 v5, 8, v6
	v_bfe_u32 v7, v6, 20, 11
	v_and_or_b32 v4, v5, s7, v4
	v_sub_u32_e32 v8, 0x3f1, v7
	v_or_b32_e32 v5, 0x1000, v4
	v_med3_i32 v8, v8, 0, 13
	v_lshrrev_b32_e32 v9, v8, v5
	v_lshlrev_b32_e32 v8, v8, v9
	v_cmp_ne_u32_e32 vcc, v8, v5
	v_cndmask_b32_e64 v5, 0, 1, vcc
	v_add_u32_e32 v7, 0xfffffc10, v7
	v_or_b32_e32 v5, v9, v5
	v_lshl_or_b32 v8, v7, 12, v4
	v_cmp_gt_i32_e32 vcc, 1, v7
	v_cndmask_b32_e32 v5, v8, v5, vcc
	v_and_b32_e32 v8, 7, v5
	v_cmp_lt_i32_e32 vcc, 5, v8
	v_cmp_eq_u32_e64 s[0:1], 3, v8
	v_lshrrev_b32_e32 v5, 2, v5
	s_or_b64 vcc, s[0:1], vcc
	v_addc_co_u32_e32 v5, vcc, 0, v5, vcc
	v_cmp_gt_i32_e32 vcc, 31, v7
	v_cndmask_b32_e32 v5, v0, v5, vcc
	v_cmp_ne_u32_e32 vcc, 0, v4
	v_cndmask_b32_e64 v4, 0, 1, vcc
	v_lshl_or_b32 v0, v4, 9, v0
	v_cmp_eq_u32_e32 vcc, s10, v7
	v_cndmask_b32_e32 v0, v5, v0, vcc
	v_lshrrev_b32_e32 v4, 16, v6
	v_and_or_b32 v0, v4, s11, v0
	v_and_b32_e32 v3, 0xffff, v3
	v_lshl_or_b32 v3, v0, 16, v3
	v_mov_b32_e32 v4, s2
	v_add_co_u32_e32 v0, vcc, s3, v1
	v_addc_co_u32_e32 v1, vcc, v2, v4, vcc
	global_store_dword v[0:1], v3, off
.LBB0_10:
	s_endpgm
	.section	.rodata,"a",@progbits
	.p2align	6, 0x0
	.amdhsa_kernel bluestein_single_back_len156_dim1_half_op_CI_CI
		.amdhsa_group_segment_fixed_size 5616
		.amdhsa_private_segment_fixed_size 0
		.amdhsa_kernarg_size 104
		.amdhsa_user_sgpr_count 6
		.amdhsa_user_sgpr_private_segment_buffer 1
		.amdhsa_user_sgpr_dispatch_ptr 0
		.amdhsa_user_sgpr_queue_ptr 0
		.amdhsa_user_sgpr_kernarg_segment_ptr 1
		.amdhsa_user_sgpr_dispatch_id 0
		.amdhsa_user_sgpr_flat_scratch_init 0
		.amdhsa_user_sgpr_private_segment_size 0
		.amdhsa_uses_dynamic_stack 0
		.amdhsa_system_sgpr_private_segment_wavefront_offset 0
		.amdhsa_system_sgpr_workgroup_id_x 1
		.amdhsa_system_sgpr_workgroup_id_y 0
		.amdhsa_system_sgpr_workgroup_id_z 0
		.amdhsa_system_sgpr_workgroup_info 0
		.amdhsa_system_vgpr_workitem_id 0
		.amdhsa_next_free_vgpr 175
		.amdhsa_next_free_sgpr 27
		.amdhsa_reserve_vcc 1
		.amdhsa_reserve_flat_scratch 0
		.amdhsa_float_round_mode_32 0
		.amdhsa_float_round_mode_16_64 0
		.amdhsa_float_denorm_mode_32 3
		.amdhsa_float_denorm_mode_16_64 3
		.amdhsa_dx10_clamp 1
		.amdhsa_ieee_mode 1
		.amdhsa_fp16_overflow 0
		.amdhsa_exception_fp_ieee_invalid_op 0
		.amdhsa_exception_fp_denorm_src 0
		.amdhsa_exception_fp_ieee_div_zero 0
		.amdhsa_exception_fp_ieee_overflow 0
		.amdhsa_exception_fp_ieee_underflow 0
		.amdhsa_exception_fp_ieee_inexact 0
		.amdhsa_exception_int_div_zero 0
	.end_amdhsa_kernel
	.text
.Lfunc_end0:
	.size	bluestein_single_back_len156_dim1_half_op_CI_CI, .Lfunc_end0-bluestein_single_back_len156_dim1_half_op_CI_CI
                                        ; -- End function
	.section	.AMDGPU.csdata,"",@progbits
; Kernel info:
; codeLenInByte = 17792
; NumSgprs: 31
; NumVgprs: 175
; ScratchSize: 0
; MemoryBound: 0
; FloatMode: 240
; IeeeMode: 1
; LDSByteSize: 5616 bytes/workgroup (compile time only)
; SGPRBlocks: 3
; VGPRBlocks: 43
; NumSGPRsForWavesPerEU: 31
; NumVGPRsForWavesPerEU: 175
; Occupancy: 1
; WaveLimiterHint : 1
; COMPUTE_PGM_RSRC2:SCRATCH_EN: 0
; COMPUTE_PGM_RSRC2:USER_SGPR: 6
; COMPUTE_PGM_RSRC2:TRAP_HANDLER: 0
; COMPUTE_PGM_RSRC2:TGID_X_EN: 1
; COMPUTE_PGM_RSRC2:TGID_Y_EN: 0
; COMPUTE_PGM_RSRC2:TGID_Z_EN: 0
; COMPUTE_PGM_RSRC2:TIDIG_COMP_CNT: 0
	.type	__hip_cuid_e8598c15f02dc081,@object ; @__hip_cuid_e8598c15f02dc081
	.section	.bss,"aw",@nobits
	.globl	__hip_cuid_e8598c15f02dc081
__hip_cuid_e8598c15f02dc081:
	.byte	0                               ; 0x0
	.size	__hip_cuid_e8598c15f02dc081, 1

	.ident	"AMD clang version 19.0.0git (https://github.com/RadeonOpenCompute/llvm-project roc-6.4.0 25133 c7fe45cf4b819c5991fe208aaa96edf142730f1d)"
	.section	".note.GNU-stack","",@progbits
	.addrsig
	.addrsig_sym __hip_cuid_e8598c15f02dc081
	.amdgpu_metadata
---
amdhsa.kernels:
  - .args:
      - .actual_access:  read_only
        .address_space:  global
        .offset:         0
        .size:           8
        .value_kind:     global_buffer
      - .actual_access:  read_only
        .address_space:  global
        .offset:         8
        .size:           8
        .value_kind:     global_buffer
      - .actual_access:  read_only
        .address_space:  global
        .offset:         16
        .size:           8
        .value_kind:     global_buffer
      - .actual_access:  read_only
        .address_space:  global
        .offset:         24
        .size:           8
        .value_kind:     global_buffer
      - .actual_access:  read_only
        .address_space:  global
        .offset:         32
        .size:           8
        .value_kind:     global_buffer
      - .offset:         40
        .size:           8
        .value_kind:     by_value
      - .address_space:  global
        .offset:         48
        .size:           8
        .value_kind:     global_buffer
      - .address_space:  global
        .offset:         56
        .size:           8
        .value_kind:     global_buffer
      - .address_space:  global
        .offset:         64
        .size:           8
        .value_kind:     global_buffer
      - .address_space:  global
        .offset:         72
        .size:           8
        .value_kind:     global_buffer
      - .offset:         80
        .size:           4
        .value_kind:     by_value
      - .address_space:  global
        .offset:         88
        .size:           8
        .value_kind:     global_buffer
      - .address_space:  global
        .offset:         96
        .size:           8
        .value_kind:     global_buffer
    .group_segment_fixed_size: 5616
    .kernarg_segment_align: 8
    .kernarg_segment_size: 104
    .language:       OpenCL C
    .language_version:
      - 2
      - 0
    .max_flat_workgroup_size: 117
    .name:           bluestein_single_back_len156_dim1_half_op_CI_CI
    .private_segment_fixed_size: 0
    .sgpr_count:     31
    .sgpr_spill_count: 0
    .symbol:         bluestein_single_back_len156_dim1_half_op_CI_CI.kd
    .uniform_work_group_size: 1
    .uses_dynamic_stack: false
    .vgpr_count:     175
    .vgpr_spill_count: 0
    .wavefront_size: 64
amdhsa.target:   amdgcn-amd-amdhsa--gfx906
amdhsa.version:
  - 1
  - 2
...

	.end_amdgpu_metadata
